;; amdgpu-corpus repo=ROCm/rocFFT kind=compiled arch=gfx906 opt=O3
	.text
	.amdgcn_target "amdgcn-amd-amdhsa--gfx906"
	.amdhsa_code_object_version 6
	.protected	bluestein_single_back_len520_dim1_sp_op_CI_CI ; -- Begin function bluestein_single_back_len520_dim1_sp_op_CI_CI
	.globl	bluestein_single_back_len520_dim1_sp_op_CI_CI
	.p2align	8
	.type	bluestein_single_back_len520_dim1_sp_op_CI_CI,@function
bluestein_single_back_len520_dim1_sp_op_CI_CI: ; @bluestein_single_back_len520_dim1_sp_op_CI_CI
; %bb.0:
	s_load_dwordx4 s[0:3], s[4:5], 0x28
	v_mul_u32_u24_e32 v1, 0x4ed, v0
	v_add_u32_sdwa v56, s6, v1 dst_sel:DWORD dst_unused:UNUSED_PAD src0_sel:DWORD src1_sel:WORD_1
	v_mov_b32_e32 v57, 0
	s_waitcnt lgkmcnt(0)
	v_cmp_gt_u64_e32 vcc, s[0:1], v[56:57]
	s_and_saveexec_b64 s[0:1], vcc
	s_cbranch_execz .LBB0_23
; %bb.1:
	s_load_dwordx2 s[12:13], s[4:5], 0x0
	s_load_dwordx2 s[14:15], s[4:5], 0x38
	v_mov_b32_e32 v2, 52
	v_mul_lo_u16_sdwa v1, v1, v2 dst_sel:DWORD dst_unused:UNUSED_PAD src0_sel:WORD_1 src1_sel:DWORD
	v_sub_u16_e32 v67, v0, v1
	v_cmp_gt_u16_e64 s[0:1], 40, v67
	v_lshlrev_b32_e32 v68, 3, v67
	s_and_saveexec_b64 s[6:7], s[0:1]
	s_cbranch_execz .LBB0_3
; %bb.2:
	s_load_dwordx2 s[8:9], s[4:5], 0x18
	v_or_b32_e32 v28, 0x140, v67
	s_waitcnt lgkmcnt(0)
	s_load_dwordx4 s[8:11], s[8:9], 0x0
	s_waitcnt lgkmcnt(0)
	v_mad_u64_u32 v[0:1], s[16:17], s10, v56, 0
	v_mad_u64_u32 v[2:3], s[16:17], s8, v67, 0
	;; [unrolled: 1-line block ×5, first 2 shown]
	v_mov_b32_e32 v1, v4
	v_lshlrev_b64 v[0:1], 3, v[0:1]
	v_mov_b32_e32 v3, v5
	v_mov_b32_e32 v6, s3
	v_lshlrev_b64 v[2:3], 3, v[2:3]
	v_add_co_u32_e32 v37, vcc, s2, v0
	v_addc_co_u32_e32 v38, vcc, v6, v1, vcc
	v_add_co_u32_e32 v0, vcc, v37, v2
	s_mul_i32 s2, s9, 0x140
	s_mul_hi_u32 s3, s8, 0x140
	v_addc_co_u32_e32 v1, vcc, v38, v3, vcc
	s_add_i32 s2, s3, s2
	s_mul_i32 s3, s8, 0x140
	v_mov_b32_e32 v3, s2
	v_add_co_u32_e32 v2, vcc, s3, v0
	v_addc_co_u32_e32 v3, vcc, v1, v3, vcc
	v_mov_b32_e32 v5, s2
	v_add_co_u32_e32 v4, vcc, s3, v2
	v_addc_co_u32_e32 v5, vcc, v3, v5, vcc
	;; [unrolled: 3-line block ×3, first 2 shown]
	global_load_dwordx2 v[8:9], v[0:1], off
	global_load_dwordx2 v[10:11], v[2:3], off
	;; [unrolled: 1-line block ×4, first 2 shown]
	global_load_dwordx2 v[16:17], v68, s[12:13]
	global_load_dwordx2 v[18:19], v68, s[12:13] offset:320
	global_load_dwordx2 v[20:21], v68, s[12:13] offset:640
	;; [unrolled: 1-line block ×3, first 2 shown]
	v_mov_b32_e32 v1, s2
	v_add_co_u32_e32 v0, vcc, s3, v6
	v_addc_co_u32_e32 v1, vcc, v7, v1, vcc
	global_load_dwordx2 v[2:3], v[0:1], off
	v_mov_b32_e32 v4, s2
	v_add_co_u32_e32 v0, vcc, s3, v0
	v_addc_co_u32_e32 v1, vcc, v1, v4, vcc
	global_load_dwordx2 v[4:5], v[0:1], off
	;; [unrolled: 4-line block ×4, first 2 shown]
	s_waitcnt vmcnt(0)
	v_mad_u64_u32 v[28:29], s[10:11], s9, v28, v[25:26]
	global_load_dwordx2 v[29:30], v68, s[12:13] offset:1280
	global_load_dwordx2 v[31:32], v68, s[12:13] offset:1600
	;; [unrolled: 1-line block ×4, first 2 shown]
	v_mov_b32_e32 v25, v28
	v_mov_b32_e32 v28, 0x280
	v_mad_u64_u32 v[0:1], s[10:11], s8, v28, v[0:1]
	v_lshlrev_b64 v[24:25], 3, v[24:25]
	s_mul_i32 s8, s9, 0x280
	v_add_co_u32_e32 v24, vcc, v37, v24
	v_addc_co_u32_e32 v25, vcc, v38, v25, vcc
	v_add_u32_e32 v1, s8, v1
	global_load_dwordx2 v[24:25], v[24:25], off
	s_nop 0
	global_load_dwordx2 v[37:38], v[0:1], off
	global_load_dwordx2 v[39:40], v68, s[12:13] offset:2560
	global_load_dwordx2 v[41:42], v68, s[12:13] offset:2880
	v_mov_b32_e32 v28, s2
	v_add_co_u32_e32 v0, vcc, s3, v0
	v_addc_co_u32_e32 v1, vcc, v1, v28, vcc
	global_load_dwordx2 v[43:44], v[0:1], off
	v_add_co_u32_e32 v0, vcc, s3, v0
	v_addc_co_u32_e32 v1, vcc, v1, v28, vcc
	global_load_dwordx2 v[45:46], v68, s[12:13] offset:3200
	global_load_dwordx2 v[47:48], v[0:1], off
	global_load_dwordx2 v[49:50], v68, s[12:13] offset:3520
	v_add_co_u32_e32 v0, vcc, s3, v0
	v_addc_co_u32_e32 v1, vcc, v1, v28, vcc
	global_load_dwordx2 v[51:52], v[0:1], off
	global_load_dwordx2 v[53:54], v68, s[12:13] offset:3840
	v_mul_f32_e32 v0, v9, v17
	v_mul_f32_e32 v1, v8, v17
	v_fmac_f32_e32 v0, v8, v16
	v_fma_f32 v1, v9, v16, -v1
	v_mul_f32_e32 v8, v11, v19
	v_mul_f32_e32 v9, v10, v19
	v_fmac_f32_e32 v8, v10, v18
	v_fma_f32 v9, v11, v18, -v9
	ds_write2_b64 v68, v[0:1], v[8:9] offset1:40
	v_mul_f32_e32 v0, v13, v21
	v_mul_f32_e32 v1, v12, v21
	v_mul_f32_e32 v8, v15, v23
	v_mul_f32_e32 v9, v14, v23
	v_fmac_f32_e32 v0, v12, v20
	v_fma_f32 v1, v13, v20, -v1
	v_fmac_f32_e32 v8, v14, v22
	v_fma_f32 v9, v15, v22, -v9
	ds_write2_b64 v68, v[0:1], v[8:9] offset0:80 offset1:120
	s_waitcnt vmcnt(13)
	v_mul_f32_e32 v0, v3, v30
	v_mul_f32_e32 v1, v2, v30
	v_fmac_f32_e32 v0, v2, v29
	v_fma_f32 v1, v3, v29, -v1
	s_waitcnt vmcnt(12)
	v_mul_f32_e32 v2, v5, v32
	v_mul_f32_e32 v3, v4, v32
	v_fmac_f32_e32 v2, v4, v31
	v_fma_f32 v3, v5, v31, -v3
	ds_write2_b64 v68, v[0:1], v[2:3] offset0:160 offset1:200
	s_waitcnt vmcnt(11)
	v_mul_f32_e32 v0, v7, v34
	v_mul_f32_e32 v1, v6, v34
	s_waitcnt vmcnt(10)
	v_mul_f32_e32 v2, v27, v36
	v_mul_f32_e32 v3, v26, v36
	v_fmac_f32_e32 v0, v6, v33
	v_fma_f32 v1, v7, v33, -v1
	v_fmac_f32_e32 v2, v26, v35
	v_fma_f32 v3, v27, v35, -v3
	v_add_u32_e32 v4, 0x400, v68
	ds_write2_b64 v4, v[0:1], v[2:3] offset0:112 offset1:152
	s_waitcnt vmcnt(7)
	v_mul_f32_e32 v0, v25, v40
	v_mul_f32_e32 v1, v24, v40
	s_waitcnt vmcnt(6)
	v_mul_f32_e32 v2, v38, v42
	v_mul_f32_e32 v3, v37, v42
	v_fmac_f32_e32 v0, v24, v39
	v_fma_f32 v1, v25, v39, -v1
	v_fmac_f32_e32 v2, v37, v41
	v_fma_f32 v3, v38, v41, -v3
	v_add_u32_e32 v4, 0x800, v68
	ds_write2_b64 v4, v[0:1], v[2:3] offset0:64 offset1:104
	s_waitcnt vmcnt(4)
	v_mul_f32_e32 v0, v44, v46
	v_mul_f32_e32 v1, v43, v46
	s_waitcnt vmcnt(2)
	v_mul_f32_e32 v2, v48, v50
	v_mul_f32_e32 v3, v47, v50
	v_fmac_f32_e32 v0, v43, v45
	v_fma_f32 v1, v44, v45, -v1
	v_fmac_f32_e32 v2, v47, v49
	v_fma_f32 v3, v48, v49, -v3
	ds_write2_b64 v4, v[0:1], v[2:3] offset0:144 offset1:184
	s_waitcnt vmcnt(0)
	v_mul_f32_e32 v0, v52, v54
	v_mul_f32_e32 v1, v51, v54
	v_fmac_f32_e32 v0, v51, v53
	v_fma_f32 v1, v52, v53, -v1
	ds_write_b64 v68, v[0:1] offset:3840
.LBB0_3:
	s_or_b64 exec, exec, s[6:7]
	s_load_dwordx2 s[2:3], s[4:5], 0x20
	s_load_dwordx2 s[8:9], s[4:5], 0x8
	v_mov_b32_e32 v0, 0
	v_mov_b32_e32 v1, 0
	s_waitcnt lgkmcnt(0)
	; wave barrier
	s_waitcnt lgkmcnt(0)
                                        ; implicit-def: $vgpr6
                                        ; implicit-def: $vgpr18
                                        ; implicit-def: $vgpr24
                                        ; implicit-def: $vgpr22
                                        ; implicit-def: $vgpr14
                                        ; implicit-def: $vgpr10
	s_and_saveexec_b64 s[4:5], s[0:1]
	s_cbranch_execz .LBB0_5
; %bb.4:
	v_add_u32_e32 v4, 0x400, v68
	v_add_u32_e32 v16, 0x800, v68
	ds_read2_b64 v[0:3], v68 offset1:40
	ds_read2_b64 v[8:11], v68 offset0:80 offset1:120
	ds_read2_b64 v[12:15], v68 offset0:160 offset1:200
	;; [unrolled: 1-line block ×5, first 2 shown]
	ds_read_b64 v[24:25], v68 offset:3840
.LBB0_5:
	s_or_b64 exec, exec, s[4:5]
	s_waitcnt lgkmcnt(0)
	v_sub_f32_e32 v75, v3, v25
	v_mul_f32_e32 v35, 0xbeedf032, v75
	v_sub_f32_e32 v78, v9, v19
	v_add_f32_e32 v26, v24, v2
	v_sub_f32_e32 v54, v2, v24
	v_mov_b32_e32 v28, v35
	v_mul_f32_e32 v39, 0xbf52af12, v78
	v_add_f32_e32 v27, v25, v3
	s_mov_b32 s6, 0x3f62ad3f
	v_mul_f32_e32 v37, 0xbeedf032, v54
	v_fmac_f32_e32 v28, 0x3f62ad3f, v26
	v_add_f32_e32 v32, v18, v8
	v_sub_f32_e32 v62, v8, v18
	v_mov_b32_e32 v30, v39
	v_add_f32_e32 v28, v28, v0
	v_fma_f32 v29, v27, s6, -v37
	s_mov_b32 s7, 0x3f116cb1
	v_add_f32_e32 v33, v19, v9
	v_mul_f32_e32 v41, 0xbf52af12, v62
	v_fmac_f32_e32 v30, 0x3f116cb1, v32
	v_sub_f32_e32 v86, v11, v17
	v_add_f32_e32 v29, v29, v1
	v_add_f32_e32 v28, v30, v28
	v_fma_f32 v30, v33, s7, -v41
	v_mul_f32_e32 v43, 0xbf7e222b, v86
	v_add_f32_e32 v29, v30, v29
	v_add_f32_e32 v34, v16, v10
	v_sub_f32_e32 v73, v10, v16
	v_mov_b32_e32 v30, v43
	s_mov_b32 s10, 0x3df6dbef
	v_add_f32_e32 v36, v17, v11
	v_mul_f32_e32 v46, 0xbf7e222b, v73
	v_fmac_f32_e32 v30, 0x3df6dbef, v34
	v_sub_f32_e32 v87, v13, v23
	v_add_f32_e32 v28, v30, v28
	v_fma_f32 v30, v36, s10, -v46
	v_mul_f32_e32 v47, 0xbf6f5d39, v87
	v_add_f32_e32 v29, v30, v29
	v_add_f32_e32 v38, v22, v12
	v_sub_f32_e32 v76, v12, v22
	v_mov_b32_e32 v30, v47
	s_mov_b32 s11, 0xbeb58ec6
	v_add_f32_e32 v40, v23, v13
	v_mul_f32_e32 v48, 0xbf6f5d39, v76
	v_fmac_f32_e32 v30, 0xbeb58ec6, v38
	v_sub_f32_e32 v94, v15, v21
	;; [unrolled: 12-line block ×3, first 2 shown]
	v_add_f32_e32 v28, v30, v28
	v_fma_f32 v30, v44, s17, -v51
	v_mul_f32_e32 v52, 0xbe750f2a, v95
	v_add_f32_e32 v29, v30, v29
	v_add_f32_e32 v45, v6, v4
	v_mov_b32_e32 v30, v52
	v_sub_f32_e32 v85, v4, v6
	s_mov_b32 s16, 0xbf788fa5
	v_fmac_f32_e32 v30, 0xbf788fa5, v45
	v_add_f32_e32 v49, v7, v5
	v_mul_f32_e32 v53, 0xbe750f2a, v85
	v_add_f32_e32 v57, v30, v28
	v_fma_f32 v28, v49, s16, -v53
	v_mul_f32_e32 v55, 0xbf52af12, v75
	v_add_f32_e32 v58, v28, v29
	v_mov_b32_e32 v28, v55
	v_mul_f32_e32 v59, 0xbf6f5d39, v78
	v_fmac_f32_e32 v28, 0x3f116cb1, v26
	v_mov_b32_e32 v29, v59
	v_add_f32_e32 v28, v28, v0
	v_fmac_f32_e32 v29, 0xbeb58ec6, v32
	v_mul_f32_e32 v63, 0xbf52af12, v54
	v_add_f32_e32 v28, v29, v28
	v_fma_f32 v29, v27, s7, -v63
	v_mul_f32_e32 v65, 0xbf6f5d39, v62
	v_add_f32_e32 v29, v29, v1
	v_fma_f32 v30, v33, s11, -v65
	v_mul_f32_e32 v60, 0xbe750f2a, v86
	v_add_f32_e32 v29, v30, v29
	v_mov_b32_e32 v30, v60
	v_fmac_f32_e32 v30, 0xbf788fa5, v34
	v_mul_f32_e32 v70, 0xbe750f2a, v73
	v_add_f32_e32 v28, v30, v28
	v_fma_f32 v30, v36, s16, -v70
	v_mul_f32_e32 v61, 0x3f29c268, v87
	v_add_f32_e32 v29, v30, v29
	v_mov_b32_e32 v30, v61
	v_fmac_f32_e32 v30, 0xbf3f9e67, v38
	;; [unrolled: 7-line block ×4, first 2 shown]
	v_mul_f32_e32 v74, 0x3eedf032, v85
	v_mul_f32_e32 v83, 0xbf7e222b, v75
	v_fma_f32 v31, v49, s6, -v74
	v_add_f32_e32 v30, v30, v28
	v_mov_b32_e32 v28, v83
	v_mul_f32_e32 v84, 0xbe750f2a, v78
	v_add_f32_e32 v31, v31, v29
	v_fmac_f32_e32 v28, 0x3df6dbef, v26
	v_mov_b32_e32 v29, v84
	v_add_f32_e32 v28, v28, v0
	v_fmac_f32_e32 v29, 0xbf788fa5, v32
	v_mul_f32_e32 v82, 0x3f6f5d39, v86
	v_add_f32_e32 v28, v29, v28
	v_mov_b32_e32 v29, v82
	v_fmac_f32_e32 v29, 0xbeb58ec6, v34
	v_mul_f32_e32 v79, 0x3eedf032, v87
	v_add_f32_e32 v28, v29, v28
	v_mov_b32_e32 v29, v79
	v_fmac_f32_e32 v29, 0x3f62ad3f, v38
	v_mul_f32_e32 v80, 0xbf52af12, v94
	v_add_f32_e32 v28, v29, v28
	v_mov_b32_e32 v29, v80
	v_fmac_f32_e32 v29, 0x3f116cb1, v42
	v_mul_f32_e32 v81, 0xbf29c268, v95
	v_add_f32_e32 v28, v29, v28
	v_mov_b32_e32 v29, v81
	v_fmac_f32_e32 v29, 0xbf3f9e67, v45
	v_mul_f32_e32 v93, 0xbf7e222b, v54
	v_add_f32_e32 v28, v29, v28
	v_fma_f32 v29, v27, s10, -v93
	v_mul_f32_e32 v92, 0xbe750f2a, v62
	v_add_f32_e32 v29, v29, v1
	v_fma_f32 v69, v33, s16, -v92
	;; [unrolled: 3-line block ×6, first 2 shown]
	v_add_f32_e32 v29, v69, v29
	v_mul_lo_u16_e32 v69, 13, v67
	s_waitcnt lgkmcnt(0)
	; wave barrier
	s_and_saveexec_b64 s[4:5], s[0:1]
	s_cbranch_execz .LBB0_7
; %bb.6:
	v_mul_f32_e32 v100, 0xbeb58ec6, v27
	v_mov_b32_e32 v96, v100
	v_mul_f32_e32 v101, 0xbf3f9e67, v33
	v_fmac_f32_e32 v96, 0x3f6f5d39, v54
	v_mov_b32_e32 v97, v101
	v_add_f32_e32 v96, v96, v1
	v_fmac_f32_e32 v97, 0xbf29c268, v62
	v_mul_f32_e32 v102, 0x3f62ad3f, v36
	v_add_f32_e32 v96, v97, v96
	v_mov_b32_e32 v97, v102
	v_fmac_f32_e32 v97, 0xbeedf032, v73
	v_mul_f32_e32 v103, 0x3df6dbef, v40
	v_add_f32_e32 v96, v97, v96
	v_mov_b32_e32 v97, v103
	;; [unrolled: 4-line block ×5, first 2 shown]
	v_mul_f32_e32 v107, 0x3f29c268, v78
	v_fmac_f32_e32 v96, 0xbeb58ec6, v26
	v_mov_b32_e32 v98, v107
	v_add_f32_e32 v96, v96, v0
	v_fmac_f32_e32 v98, 0xbf3f9e67, v32
	v_mul_f32_e32 v108, 0x3eedf032, v86
	v_add_f32_e32 v96, v98, v96
	v_mov_b32_e32 v98, v108
	v_fmac_f32_e32 v98, 0x3f62ad3f, v34
	v_mul_f32_e32 v109, 0xbf7e222b, v87
	v_add_f32_e32 v96, v98, v96
	v_mov_b32_e32 v98, v109
	;; [unrolled: 4-line block ×5, first 2 shown]
	v_mul_f32_e32 v113, 0x3df6dbef, v33
	v_fmac_f32_e32 v98, 0x3f29c268, v54
	v_mov_b32_e32 v99, v113
	v_add_f32_e32 v98, v98, v1
	v_fmac_f32_e32 v99, 0xbf7e222b, v62
	v_mul_f32_e32 v114, 0x3f116cb1, v36
	v_add_f32_e32 v98, v99, v98
	v_mov_b32_e32 v99, v114
	v_fmac_f32_e32 v99, 0x3f52af12, v73
	v_mul_f32_e32 v115, 0xbf788fa5, v40
	v_add_f32_e32 v98, v99, v98
	v_mov_b32_e32 v99, v115
	;; [unrolled: 4-line block ×4, first 2 shown]
	v_mul_f32_e32 v118, 0x3f7e222b, v78
	v_fmac_f32_e32 v99, 0xbf3f9e67, v26
	v_mov_b32_e32 v119, v118
	v_add_f32_e32 v99, v99, v0
	v_fmac_f32_e32 v119, 0x3df6dbef, v32
	v_add_f32_e32 v99, v119, v99
	v_mul_f32_e32 v119, 0xbf52af12, v86
	v_mov_b32_e32 v120, v119
	v_fmac_f32_e32 v120, 0x3f116cb1, v34
	v_add_f32_e32 v99, v120, v99
	v_mul_f32_e32 v120, 0x3e750f2a, v87
	v_mov_b32_e32 v121, v120
	;; [unrolled: 4-line block ×3, first 2 shown]
	v_fmac_f32_e32 v122, 0x3f62ad3f, v42
	v_mul_f32_e32 v123, 0xbeb58ec6, v49
	v_add_f32_e32 v122, v122, v99
	v_mov_b32_e32 v99, v123
	v_fmac_f32_e32 v99, 0x3f6f5d39, v85
	v_mul_f32_e32 v124, 0xbf6f5d39, v95
	v_add_f32_e32 v99, v99, v98
	v_mov_b32_e32 v98, v124
	v_fmac_f32_e32 v98, 0xbeb58ec6, v45
	v_add_f32_e32 v98, v98, v122
	v_mul_f32_e32 v122, 0xbe750f2a, v54
	v_mov_b32_e32 v125, v122
	v_mul_f32_e32 v126, 0x3eedf032, v62
	v_fmac_f32_e32 v125, 0xbf788fa5, v27
	v_mov_b32_e32 v127, v126
	v_add_f32_e32 v125, v125, v1
	v_fmac_f32_e32 v127, 0x3f62ad3f, v33
	v_add_f32_e32 v125, v127, v125
	v_mul_f32_e32 v127, 0xbf29c268, v73
	v_mov_b32_e32 v128, v127
	v_fmac_f32_e32 v128, 0xbf3f9e67, v36
	v_add_f32_e32 v125, v128, v125
	v_mul_f32_e32 v128, 0x3f52af12, v76
	v_mov_b32_e32 v129, v128
	;; [unrolled: 4-line block ×3, first 2 shown]
	v_fmac_f32_e32 v130, 0xbeb58ec6, v44
	v_add_f32_e32 v125, v130, v125
	v_mul_f32_e32 v130, 0xbe750f2a, v75
	v_fma_f32 v75, v26, s16, -v130
	v_mul_f32_e32 v131, 0x3eedf032, v78
	v_add_f32_e32 v75, v75, v0
	v_fma_f32 v78, v32, s6, -v131
	v_mul_f32_e32 v132, 0xbf29c268, v86
	v_add_f32_e32 v75, v78, v75
	;; [unrolled: 3-line block ×5, first 2 shown]
	v_mov_b32_e32 v78, v135
	v_fmac_f32_e32 v78, 0x3df6dbef, v49
	v_add_f32_e32 v87, v78, v125
	v_mul_f32_e32 v125, 0x3f7e222b, v95
	v_fma_f32 v78, v45, s10, -v125
	v_fmac_f32_e32 v112, 0xbf29c268, v54
	v_add_f32_e32 v86, v78, v75
	v_add_f32_e32 v75, v112, v1
	v_fmac_f32_e32 v113, 0x3f7e222b, v62
	v_fma_f32 v78, v26, s17, -v117
	v_add_f32_e32 v75, v113, v75
	v_fmac_f32_e32 v114, 0xbf52af12, v73
	v_add_f32_e32 v78, v78, v0
	v_fma_f32 v94, v32, s10, -v118
	v_add_f32_e32 v75, v114, v75
	v_fmac_f32_e32 v115, 0x3e750f2a, v76
	v_add_f32_e32 v78, v94, v78
	;; [unrolled: 4-line block ×3, first 2 shown]
	v_fma_f32 v94, v38, s16, -v120
	v_add_f32_e32 v75, v116, v75
	v_add_f32_e32 v78, v94, v78
	v_fma_f32 v94, v42, s6, -v121
	v_fmac_f32_e32 v123, 0xbf6f5d39, v85
	v_fmac_f32_e32 v104, 0x3e750f2a, v77
	v_mul_f32_e32 v77, 0x3df6dbef, v27
	v_add_f32_e32 v78, v94, v78
	v_add_f32_e32 v95, v123, v75
	v_fma_f32 v75, v45, s11, -v124
	v_fmac_f32_e32 v100, 0xbf6f5d39, v54
	v_fmac_f32_e32 v103, 0xbf7e222b, v76
	v_fma_f32 v76, v32, s17, -v107
	v_mul_f32_e32 v107, 0xbf788fa5, v33
	v_add_f32_e32 v77, v93, v77
	v_add_f32_e32 v94, v75, v78
	v_fmac_f32_e32 v101, 0x3f29c268, v62
	v_add_f32_e32 v54, v100, v1
	v_fma_f32 v75, v26, s11, -v106
	v_add_f32_e32 v92, v92, v107
	v_add_f32_e32 v77, v77, v1
	v_add_f32_e32 v54, v101, v54
	v_fmac_f32_e32 v102, 0x3eedf032, v73
	v_add_f32_e32 v75, v75, v0
	v_add_f32_e32 v77, v92, v77
	v_mul_f32_e32 v92, 0xbeb58ec6, v36
	v_add_f32_e32 v54, v102, v54
	v_add_f32_e32 v75, v76, v75
	v_fma_f32 v76, v34, s6, -v108
	v_add_f32_e32 v91, v91, v92
	v_mul_f32_e32 v73, 0x3f62ad3f, v27
	v_add_f32_e32 v54, v103, v54
	v_add_f32_e32 v75, v76, v75
	v_fma_f32 v76, v38, s10, -v109
	v_add_f32_e32 v77, v91, v77
	v_mul_f32_e32 v91, 0x3f62ad3f, v40
	v_add_f32_e32 v54, v104, v54
	v_fmac_f32_e32 v105, 0x3f52af12, v85
	v_mul_f32_e32 v85, 0x3f116cb1, v33
	v_add_f32_e32 v75, v76, v75
	v_fma_f32 v76, v42, s16, -v110
	v_add_f32_e32 v90, v90, v91
	v_add_f32_e32 v37, v37, v73
	;; [unrolled: 1-line block ×4, first 2 shown]
	v_mul_f32_e32 v78, 0x3df6dbef, v26
	v_add_f32_e32 v75, v76, v75
	v_add_f32_e32 v76, v105, v54
	v_mul_f32_e32 v105, 0x3df6dbef, v36
	v_add_f32_e32 v77, v90, v77
	v_mul_f32_e32 v90, 0x3f116cb1, v44
	v_add_f32_e32 v37, v37, v1
	v_add_f32_e32 v41, v41, v85
	v_add_f32_e32 v3, v9, v3
	v_add_f32_e32 v2, v8, v2
	v_mul_f32_e32 v106, 0xbf788fa5, v32
	v_mul_f32_e32 v92, 0xbeb58ec6, v34
	v_add_f32_e32 v89, v89, v90
	v_mul_f32_e32 v90, 0xbeb58ec6, v40
	v_sub_f32_e32 v78, v78, v83
	v_add_f32_e32 v37, v41, v37
	v_add_f32_e32 v41, v46, v105
	;; [unrolled: 1-line block ×4, first 2 shown]
	v_sub_f32_e32 v84, v106, v84
	v_add_f32_e32 v78, v78, v0
	v_sub_f32_e32 v82, v92, v82
	v_mul_f32_e32 v92, 0xbf3f9e67, v44
	v_add_f32_e32 v37, v41, v37
	v_add_f32_e32 v41, v48, v90
	;; [unrolled: 1-line block ×4, first 2 shown]
	v_mul_f32_e32 v100, 0x3f62ad3f, v26
	v_mul_f32_e32 v62, 0x3f116cb1, v27
	;; [unrolled: 1-line block ×3, first 2 shown]
	v_add_f32_e32 v78, v84, v78
	v_mul_f32_e32 v108, 0xbf788fa5, v49
	v_add_f32_e32 v37, v41, v37
	v_add_f32_e32 v41, v51, v92
	;; [unrolled: 1-line block ×4, first 2 shown]
	v_mul_f32_e32 v101, 0x3f116cb1, v26
	v_mul_f32_e32 v102, 0x3f116cb1, v32
	v_fma_f32 v54, v45, s7, -v111
	v_add_f32_e32 v78, v82, v78
	v_sub_f32_e32 v79, v106, v79
	v_add_f32_e32 v62, v63, v62
	v_add_f32_e32 v37, v41, v37
	;; [unrolled: 1-line block ×3, first 2 shown]
	v_sub_f32_e32 v35, v100, v35
	v_add_f32_e32 v3, v5, v3
	v_add_f32_e32 v2, v4, v2
	v_fma_f32 v4, v27, s16, -v122
	v_mul_f32_e32 v103, 0xbeb58ec6, v32
	v_mul_f32_e32 v104, 0xbeb58ec6, v33
	v_add_f32_e32 v75, v54, v75
	v_mul_f32_e32 v54, 0x3df6dbef, v34
	v_add_f32_e32 v78, v79, v78
	;; [unrolled: 2-line block ×3, first 2 shown]
	v_sub_f32_e32 v55, v101, v55
	v_add_f32_e32 v48, v41, v37
	v_add_f32_e32 v35, v35, v0
	v_sub_f32_e32 v37, v102, v39
	v_add_f32_e32 v3, v7, v3
	v_add_f32_e32 v2, v6, v2
	;; [unrolled: 1-line block ×3, first 2 shown]
	v_fma_f32 v4, v33, s6, -v126
	v_fmac_f32_e32 v130, 0xbf788fa5, v26
	v_mul_f32_e32 v93, 0xbf788fa5, v34
	v_mul_f32_e32 v107, 0xbf788fa5, v36
	;; [unrolled: 1-line block ×3, first 2 shown]
	v_add_f32_e32 v77, v89, v77
	v_mul_f32_e32 v89, 0xbf3f9e67, v49
	v_sub_f32_e32 v79, v79, v80
	v_add_f32_e32 v63, v65, v104
	v_add_f32_e32 v55, v55, v0
	v_sub_f32_e32 v59, v103, v59
	v_add_f32_e32 v35, v37, v35
	v_sub_f32_e32 v37, v54, v43
	v_add_f32_e32 v3, v21, v3
	v_add_f32_e32 v2, v20, v2
	;; [unrolled: 1-line block ×3, first 2 shown]
	v_fma_f32 v4, v36, s17, -v127
	v_add_f32_e32 v0, v130, v0
	v_fmac_f32_e32 v131, 0x3f62ad3f, v32
	v_add_f32_e32 v88, v88, v89
	v_mul_f32_e32 v89, 0xbf3f9e67, v38
	v_mul_f32_e32 v83, 0xbf3f9e67, v40
	;; [unrolled: 1-line block ×3, first 2 shown]
	v_add_f32_e32 v79, v79, v78
	v_mul_f32_e32 v78, 0xbf3f9e67, v45
	v_add_f32_e32 v62, v63, v62
	v_add_f32_e32 v63, v70, v107
	;; [unrolled: 1-line block ×3, first 2 shown]
	v_sub_f32_e32 v59, v93, v60
	v_add_f32_e32 v35, v37, v35
	v_sub_f32_e32 v37, v91, v47
	v_add_f32_e32 v3, v23, v3
	v_add_f32_e32 v2, v22, v2
	;; [unrolled: 1-line block ×3, first 2 shown]
	v_fma_f32 v4, v40, s7, -v128
	v_add_f32_e32 v0, v131, v0
	v_fmac_f32_e32 v132, 0xbf3f9e67, v34
	v_mul_f32_e32 v82, 0x3df6dbef, v42
	v_mul_f32_e32 v106, 0x3df6dbef, v44
	;; [unrolled: 1-line block ×3, first 2 shown]
	v_sub_f32_e32 v81, v78, v81
	v_add_f32_e32 v62, v63, v62
	v_add_f32_e32 v63, v71, v83
	;; [unrolled: 1-line block ×3, first 2 shown]
	v_sub_f32_e32 v59, v89, v61
	v_add_f32_e32 v35, v37, v35
	v_sub_f32_e32 v37, v84, v50
	v_add_f32_e32 v3, v17, v3
	v_add_f32_e32 v2, v16, v2
	;; [unrolled: 1-line block ×3, first 2 shown]
	v_fma_f32 v4, v44, s11, -v129
	v_add_f32_e32 v0, v132, v0
	v_fmac_f32_e32 v133, 0x3f116cb1, v38
	v_add_f32_e32 v78, v88, v77
	v_add_f32_e32 v77, v81, v79
	v_mul_f32_e32 v79, 0x3f62ad3f, v45
	v_mul_f32_e32 v81, 0x3f62ad3f, v49
	v_add_f32_e32 v62, v63, v62
	v_add_f32_e32 v63, v72, v106
	;; [unrolled: 1-line block ×3, first 2 shown]
	v_sub_f32_e32 v59, v82, v64
	v_add_f32_e32 v35, v37, v35
	v_sub_f32_e32 v37, v80, v52
	v_add_f32_e32 v3, v19, v3
	v_add_f32_e32 v2, v18, v2
	;; [unrolled: 1-line block ×3, first 2 shown]
	v_fma_f32 v4, v49, s10, -v135
	v_add_f32_e32 v0, v133, v0
	v_fmac_f32_e32 v134, 0xbeb58ec6, v42
	v_add_f32_e32 v62, v63, v62
	v_add_f32_e32 v63, v74, v81
	;; [unrolled: 1-line block ×3, first 2 shown]
	v_sub_f32_e32 v59, v79, v66
	v_add_f32_e32 v47, v37, v35
	v_add_f32_e32 v3, v25, v3
	;; [unrolled: 1-line block ×5, first 2 shown]
	v_fmac_f32_e32 v125, 0x3df6dbef, v45
	v_lshlrev_b32_e32 v4, 3, v69
	v_add_f32_e32 v62, v63, v62
	v_add_f32_e32 v61, v59, v55
	v_add_f32_e32 v0, v125, v0
	ds_write2_b64 v4, v[2:3], v[47:48] offset1:1
	ds_write2_b64 v4, v[61:62], v[77:78] offset0:2 offset1:3
	ds_write2_b64 v4, v[75:76], v[94:95] offset0:4 offset1:5
	;; [unrolled: 1-line block ×5, first 2 shown]
	ds_write_b64 v4, v[57:58] offset:96
.LBB0_7:
	s_or_b64 exec, exec, s[4:5]
	s_movk_i32 s4, 0x4f
	v_mul_lo_u16_sdwa v0, v67, s4 dst_sel:DWORD dst_unused:UNUSED_PAD src0_sel:BYTE_0 src1_sel:DWORD
	v_lshrrev_b16_e32 v40, 10, v0
	v_mul_lo_u16_e32 v0, 13, v40
	v_sub_u16_e32 v0, v67, v0
	v_and_b32_e32 v41, 0xff, v0
	v_mov_b32_e32 v0, s8
	s_movk_i32 s4, 0x48
	v_mov_b32_e32 v1, s9
	v_mad_u64_u32 v[16:17], s[4:5], v41, s4, v[0:1]
	s_load_dwordx4 s[4:7], s[2:3], 0x0
	s_waitcnt lgkmcnt(0)
	; wave barrier
	s_waitcnt lgkmcnt(0)
	global_load_dwordx4 v[12:15], v[16:17], off
	global_load_dwordx4 v[8:11], v[16:17], off offset:16
	global_load_dwordx4 v[4:7], v[16:17], off offset:32
	;; [unrolled: 1-line block ×3, first 2 shown]
	global_load_dwordx2 v[59:60], v[16:17], off offset:64
	v_add_u32_e32 v24, 0x400, v68
	ds_read2_b64 v[16:19], v68 offset1:52
	ds_read2_b64 v[20:23], v68 offset0:104 offset1:156
	v_add_u32_e32 v71, 0x800, v68
	ds_read2_b64 v[24:27], v24 offset0:80 offset1:132
	ds_read2_b64 v[32:35], v71 offset0:56 offset1:108
	;; [unrolled: 1-line block ×3, first 2 shown]
	s_mov_b32 s10, 0x3f737871
	s_mov_b32 s11, 0x3f167918
	;; [unrolled: 1-line block ×4, first 2 shown]
	v_mul_u32_u24_e32 v40, 0x82, v40
	v_add_lshl_u32 v70, v40, v41, 3
	s_waitcnt lgkmcnt(0)
	; wave barrier
	s_waitcnt vmcnt(4) lgkmcnt(0)
	v_mul_f32_e32 v42, v19, v13
	v_mul_f32_e32 v43, v18, v13
	;; [unrolled: 1-line block ×3, first 2 shown]
	s_waitcnt vmcnt(3)
	v_mul_f32_e32 v46, v23, v9
	v_mul_f32_e32 v48, v25, v11
	s_waitcnt vmcnt(2)
	v_mul_f32_e32 v52, v33, v7
	s_waitcnt vmcnt(1)
	v_mul_f32_e32 v61, v37, v3
	v_mul_f32_e32 v45, v20, v15
	;; [unrolled: 1-line block ×6, first 2 shown]
	v_fma_f32 v42, v18, v12, -v42
	v_fmac_f32_e32 v43, v19, v12
	v_fma_f32 v18, v20, v14, -v44
	v_fma_f32 v19, v22, v8, -v46
	;; [unrolled: 1-line block ×5, first 2 shown]
	v_mul_f32_e32 v51, v26, v5
	v_mul_f32_e32 v53, v32, v7
	;; [unrolled: 1-line block ×3, first 2 shown]
	s_waitcnt vmcnt(0)
	v_mul_f32_e32 v63, v39, v60
	v_fmac_f32_e32 v47, v23, v8
	v_fma_f32 v23, v34, v0, -v54
	v_fmac_f32_e32 v55, v35, v0
	v_sub_f32_e32 v34, v18, v20
	v_sub_f32_e32 v35, v24, v22
	v_add_f32_e32 v36, v18, v24
	v_mul_f32_e32 v50, v27, v5
	v_mul_f32_e32 v64, v38, v60
	v_fmac_f32_e32 v49, v25, v10
	v_fmac_f32_e32 v51, v27, v4
	;; [unrolled: 1-line block ×4, first 2 shown]
	v_fma_f32 v25, v38, v59, -v63
	v_add_f32_e32 v27, v20, v22
	v_sub_f32_e32 v37, v20, v18
	v_sub_f32_e32 v38, v22, v24
	v_add_f32_e32 v34, v34, v35
	v_fma_f32 v35, -0.5, v36, v16
	v_fmac_f32_e32 v45, v21, v14
	v_fma_f32 v21, v26, v4, -v50
	v_add_f32_e32 v26, v16, v18
	v_sub_f32_e32 v33, v49, v53
	v_fma_f32 v27, -0.5, v27, v16
	v_add_f32_e32 v16, v37, v38
	v_mov_b32_e32 v38, v35
	v_sub_f32_e32 v32, v45, v62
	v_fmac_f32_e32 v35, 0x3f737871, v33
	v_fmac_f32_e32 v38, 0xbf737871, v33
	;; [unrolled: 1-line block ×6, first 2 shown]
	v_add_f32_e32 v16, v49, v53
	v_fmac_f32_e32 v64, v39, v59
	v_add_f32_e32 v39, v17, v45
	v_fma_f32 v44, -0.5, v16, v17
	v_add_f32_e32 v26, v26, v20
	v_add_f32_e32 v36, v39, v49
	v_sub_f32_e32 v16, v18, v24
	v_mov_b32_e32 v39, v44
	v_add_f32_e32 v26, v26, v22
	v_fmac_f32_e32 v39, 0xbf737871, v16
	v_sub_f32_e32 v18, v20, v22
	v_sub_f32_e32 v20, v45, v49
	;; [unrolled: 1-line block ×3, first 2 shown]
	v_fmac_f32_e32 v44, 0x3f737871, v16
	v_fmac_f32_e32 v39, 0xbf167918, v18
	v_add_f32_e32 v20, v20, v22
	v_fmac_f32_e32 v44, 0x3f167918, v18
	v_fmac_f32_e32 v39, 0x3e9e377a, v20
	v_fmac_f32_e32 v44, 0x3e9e377a, v20
	v_add_f32_e32 v20, v45, v62
	v_fma_f32 v46, -0.5, v20, v17
	v_mov_b32_e32 v48, v46
	v_fmac_f32_e32 v48, 0x3f737871, v18
	v_fmac_f32_e32 v46, 0xbf737871, v18
	;; [unrolled: 1-line block ×4, first 2 shown]
	v_add_f32_e32 v16, v42, v19
	v_mov_b32_e32 v37, v27
	v_add_f32_e32 v16, v16, v21
	v_fmac_f32_e32 v27, 0xbf737871, v32
	v_fmac_f32_e32 v37, 0x3f737871, v32
	v_add_f32_e32 v16, v16, v23
	v_fmac_f32_e32 v27, 0xbf167918, v33
	v_fmac_f32_e32 v37, 0x3f167918, v33
	v_add_f32_e32 v32, v16, v25
	v_add_f32_e32 v16, v21, v23
	;; [unrolled: 1-line block ×3, first 2 shown]
	v_fmac_f32_e32 v27, 0x3e9e377a, v34
	v_fmac_f32_e32 v37, 0x3e9e377a, v34
	v_sub_f32_e32 v17, v49, v45
	v_sub_f32_e32 v20, v53, v62
	v_fma_f32 v34, -0.5, v16, v42
	v_add_f32_e32 v33, v36, v62
	v_add_f32_e32 v17, v17, v20
	v_sub_f32_e32 v16, v47, v64
	v_mov_b32_e32 v36, v34
	v_fmac_f32_e32 v48, 0x3e9e377a, v17
	v_fmac_f32_e32 v46, 0x3e9e377a, v17
	;; [unrolled: 1-line block ×3, first 2 shown]
	v_sub_f32_e32 v17, v51, v55
	v_sub_f32_e32 v18, v19, v21
	;; [unrolled: 1-line block ×3, first 2 shown]
	v_fmac_f32_e32 v34, 0xbf737871, v16
	v_fmac_f32_e32 v36, 0x3f167918, v17
	v_add_f32_e32 v18, v18, v20
	v_fmac_f32_e32 v34, 0xbf167918, v17
	v_fmac_f32_e32 v36, 0x3e9e377a, v18
	;; [unrolled: 1-line block ×3, first 2 shown]
	v_add_f32_e32 v18, v19, v25
	v_fmac_f32_e32 v42, -0.5, v18
	v_mov_b32_e32 v45, v42
	v_fmac_f32_e32 v45, 0xbf737871, v17
	v_fmac_f32_e32 v42, 0x3f737871, v17
	;; [unrolled: 1-line block ×4, first 2 shown]
	v_add_f32_e32 v16, v43, v47
	v_add_f32_e32 v16, v16, v51
	;; [unrolled: 1-line block ×5, first 2 shown]
	v_sub_f32_e32 v18, v21, v19
	v_sub_f32_e32 v20, v23, v25
	v_fma_f32 v50, -0.5, v16, v43
	v_add_f32_e32 v18, v18, v20
	v_sub_f32_e32 v16, v19, v25
	v_mov_b32_e32 v19, v50
	v_fmac_f32_e32 v45, 0x3e9e377a, v18
	v_fmac_f32_e32 v42, 0x3e9e377a, v18
	;; [unrolled: 1-line block ×3, first 2 shown]
	v_sub_f32_e32 v17, v21, v23
	v_sub_f32_e32 v18, v47, v51
	;; [unrolled: 1-line block ×3, first 2 shown]
	v_fmac_f32_e32 v50, 0x3f737871, v16
	v_fmac_f32_e32 v19, 0xbf167918, v17
	v_add_f32_e32 v18, v18, v20
	v_fmac_f32_e32 v50, 0x3f167918, v17
	v_fmac_f32_e32 v19, 0x3e9e377a, v18
	;; [unrolled: 1-line block ×3, first 2 shown]
	v_add_f32_e32 v18, v47, v64
	v_fmac_f32_e32 v43, -0.5, v18
	v_mov_b32_e32 v21, v43
	v_fmac_f32_e32 v21, 0x3f737871, v17
	v_sub_f32_e32 v18, v51, v47
	v_sub_f32_e32 v20, v55, v64
	v_fmac_f32_e32 v21, 0xbf167918, v16
	v_add_f32_e32 v18, v18, v20
	v_fmac_f32_e32 v21, 0x3e9e377a, v18
	v_fmac_f32_e32 v43, 0xbf737871, v17
	;; [unrolled: 1-line block ×3, first 2 shown]
	v_mul_f32_e32 v51, 0x3f737871, v21
	v_fmac_f32_e32 v43, 0x3e9e377a, v18
	v_mul_f32_e32 v47, 0x3f167918, v19
	v_fmac_f32_e32 v51, 0x3e9e377a, v45
	v_mul_f32_e32 v17, 0x3e9e377a, v42
	v_mul_f32_e32 v54, 0xbf167918, v36
	;; [unrolled: 1-line block ×3, first 2 shown]
	v_add_f32_e32 v26, v26, v24
	v_fmac_f32_e32 v47, 0x3f4f1bbd, v36
	v_fma_f32 v52, v43, s10, -v17
	v_mul_f32_e32 v17, 0x3f4f1bbd, v34
	v_fmac_f32_e32 v54, 0x3f4f1bbd, v19
	v_fmac_f32_e32 v45, 0x3e9e377a, v21
	v_mul_f32_e32 v23, 0x3e9e377a, v43
	v_mul_f32_e32 v25, 0x3f4f1bbd, v50
	v_add_f32_e32 v16, v26, v32
	v_add_f32_e32 v18, v37, v47
	;; [unrolled: 1-line block ×3, first 2 shown]
	v_fma_f32 v53, v50, s11, -v17
	v_add_f32_e32 v17, v33, v49
	v_add_f32_e32 v19, v39, v54
	v_fma_f32 v42, v42, s2, -v23
	v_fma_f32 v43, v34, s3, -v25
	v_sub_f32_e32 v36, v37, v47
	v_sub_f32_e32 v38, v38, v51
	;; [unrolled: 1-line block ×4, first 2 shown]
	v_add_f32_e32 v22, v35, v52
	v_add_f32_e32 v24, v27, v53
	;; [unrolled: 1-line block ×5, first 2 shown]
	v_sub_f32_e32 v26, v26, v32
	v_sub_f32_e32 v32, v35, v52
	;; [unrolled: 1-line block ×6, first 2 shown]
	ds_write2_b64 v70, v[16:17], v[18:19] offset1:13
	ds_write2_b64 v70, v[20:21], v[22:23] offset0:26 offset1:39
	ds_write2_b64 v70, v[24:25], v[26:27] offset0:52 offset1:65
	;; [unrolled: 1-line block ×4, first 2 shown]
	s_waitcnt lgkmcnt(0)
	; wave barrier
	s_waitcnt lgkmcnt(0)
	ds_read2_b64 v[38:41], v68 offset1:52
	ds_read2_b64 v[42:45], v68 offset0:130 offset1:182
	ds_read2_b64 v[46:49], v71 offset0:4 offset1:56
	;; [unrolled: 1-line block ×3, first 2 shown]
	v_cmp_gt_u16_e64 s[2:3], 26, v67
	s_and_saveexec_b64 s[10:11], s[2:3]
	s_cbranch_execz .LBB0_9
; %bb.8:
	ds_read2_b64 v[32:35], v68 offset0:104 offset1:234
	ds_read2_b64 v[28:31], v71 offset0:108 offset1:238
.LBB0_9:
	s_or_b64 exec, exec, s[10:11]
	v_mad_u64_u32 v[16:17], s[10:11], v67, 24, s[8:9]
	v_add_u32_e32 v18, 0x68, v67
	v_subrev_u32_e32 v19, 26, v67
	v_cndmask_b32_e64 v18, v19, v18, s[2:3]
	global_load_dwordx2 v[63:64], v[16:17], off offset:952
	global_load_dwordx4 v[20:23], v[16:17], off offset:936
	global_load_dwordx2 v[65:66], v[16:17], off offset:2200
	global_load_dwordx4 v[24:27], v[16:17], off offset:2184
	v_mul_i32_i24_e32 v16, 24, v18
	v_mov_b32_e32 v37, s9
	v_mul_hi_i32_i24_e32 v19, 24, v18
	v_add_co_u32_e32 v36, vcc, s8, v16
	v_addc_co_u32_e32 v37, vcc, v37, v19, vcc
	global_load_dwordx4 v[16:19], v[36:37], off offset:936
	global_load_dwordx2 v[61:62], v[36:37], off offset:952
	s_waitcnt vmcnt(5) lgkmcnt(0)
	v_mul_f32_e32 v73, v50, v64
	s_waitcnt vmcnt(4)
	v_mul_f32_e32 v36, v43, v21
	v_mul_f32_e32 v37, v42, v21
	;; [unrolled: 1-line block ×5, first 2 shown]
	s_waitcnt vmcnt(2)
	v_mul_f32_e32 v74, v45, v25
	v_mul_f32_e32 v75, v44, v25
	;; [unrolled: 1-line block ×5, first 2 shown]
	s_waitcnt vmcnt(1)
	v_mul_f32_e32 v83, v28, v19
	s_waitcnt vmcnt(0)
	v_mul_f32_e32 v85, v30, v62
	v_fma_f32 v36, v42, v20, -v36
	v_fmac_f32_e32 v37, v43, v20
	v_fma_f32 v42, v46, v22, -v54
	v_fmac_f32_e32 v55, v47, v22
	v_fmac_f32_e32 v73, v51, v63
	v_mul_f32_e32 v76, v49, v27
	v_mul_f32_e32 v80, v35, v17
	;; [unrolled: 1-line block ×5, first 2 shown]
	v_fma_f32 v43, v50, v63, -v72
	v_fma_f32 v44, v44, v24, -v74
	v_fmac_f32_e32 v75, v45, v24
	v_fmac_f32_e32 v77, v49, v26
	v_fma_f32 v46, v52, v65, -v78
	v_fmac_f32_e32 v79, v53, v65
	v_fmac_f32_e32 v83, v29, v18
	;; [unrolled: 1-line block ×3, first 2 shown]
	v_sub_f32_e32 v29, v38, v42
	v_sub_f32_e32 v31, v39, v55
	;; [unrolled: 1-line block ×3, first 2 shown]
	v_fma_f32 v45, v48, v26, -v76
	v_fma_f32 v34, v34, v16, -v80
	v_fmac_f32_e32 v81, v35, v16
	v_fma_f32 v28, v28, v18, -v82
	v_fma_f32 v35, v30, v61, -v84
	v_sub_f32_e32 v30, v36, v43
	v_sub_f32_e32 v47, v41, v77
	;; [unrolled: 1-line block ×4, first 2 shown]
	v_fma_f32 v48, v39, 2.0, -v31
	v_fma_f32 v37, v37, 2.0, -v42
	v_sub_f32_e32 v45, v40, v45
	v_sub_f32_e32 v50, v32, v28
	;; [unrolled: 1-line block ×3, first 2 shown]
	v_fma_f32 v28, v38, 2.0, -v29
	v_sub_f32_e32 v38, v29, v42
	v_fma_f32 v52, v41, 2.0, -v47
	v_fma_f32 v41, v75, 2.0, -v46
	v_sub_f32_e32 v37, v48, v37
	v_sub_f32_e32 v35, v34, v35
	;; [unrolled: 1-line block ×3, first 2 shown]
	v_fma_f32 v36, v36, 2.0, -v30
	v_add_f32_e32 v39, v31, v30
	v_fma_f32 v49, v40, 2.0, -v45
	v_fma_f32 v40, v44, 2.0, -v43
	v_sub_f32_e32 v42, v45, v46
	v_fma_f32 v32, v32, 2.0, -v50
	v_fma_f32 v33, v33, 2.0, -v51
	v_fma_f32 v30, v29, 2.0, -v38
	v_sub_f32_e32 v41, v52, v41
	v_fma_f32 v29, v48, 2.0, -v37
	v_fma_f32 v34, v34, 2.0, -v35
	v_fma_f32 v48, v81, 2.0, -v54
	v_add_f32_e32 v43, v47, v43
	v_sub_f32_e32 v36, v28, v36
	v_sub_f32_e32 v40, v49, v40
	v_fma_f32 v46, v45, 2.0, -v42
	v_fma_f32 v45, v52, 2.0, -v41
	v_sub_f32_e32 v52, v32, v34
	v_sub_f32_e32 v53, v33, v48
	;; [unrolled: 1-line block ×3, first 2 shown]
	v_add_f32_e32 v55, v51, v35
	v_fma_f32 v31, v31, 2.0, -v39
	v_fma_f32 v47, v47, 2.0, -v43
	;; [unrolled: 1-line block ×8, first 2 shown]
	ds_write2_b64 v68, v[28:29], v[44:45] offset1:52
	ds_write2_b64 v68, v[30:31], v[46:47] offset0:130 offset1:182
	ds_write2_b64 v71, v[36:37], v[40:41] offset0:4 offset1:56
	;; [unrolled: 1-line block ×3, first 2 shown]
	s_and_saveexec_b64 s[8:9], s[2:3]
	s_cbranch_execz .LBB0_11
; %bb.10:
	v_add_u32_e32 v32, 0x800, v68
	ds_write2_b64 v68, v[48:49], v[50:51] offset0:104 offset1:234
	ds_write2_b64 v32, v[52:53], v[54:55] offset0:108 offset1:238
.LBB0_11:
	s_or_b64 exec, exec, s[8:9]
	s_waitcnt lgkmcnt(0)
	; wave barrier
	s_waitcnt lgkmcnt(0)
	s_and_saveexec_b64 s[8:9], s[0:1]
	s_cbranch_execz .LBB0_13
; %bb.12:
	v_mov_b32_e32 v32, s13
	v_add_co_u32_e32 v34, vcc, s12, v68
	v_addc_co_u32_e32 v35, vcc, 0, v32, vcc
	v_add_co_u32_e32 v32, vcc, 0x1040, v34
	v_addc_co_u32_e32 v33, vcc, 0, v35, vcc
	v_add_co_u32_e32 v34, vcc, 0x1000, v34
	v_addc_co_u32_e32 v35, vcc, 0, v35, vcc
	global_load_dwordx2 v[71:72], v[34:35], off offset:64
	global_load_dwordx2 v[91:92], v[32:33], off offset:320
	;; [unrolled: 1-line block ×13, first 2 shown]
	ds_read_b64 v[32:33], v68
	v_add_u32_e32 v116, 0x800, v68
	s_waitcnt vmcnt(12) lgkmcnt(0)
	v_mul_f32_e32 v34, v33, v72
	v_mul_f32_e32 v35, v32, v72
	v_fma_f32 v34, v32, v71, -v34
	v_fmac_f32_e32 v35, v33, v71
	ds_write_b64 v68, v[34:35]
	ds_read2_b64 v[32:35], v68 offset0:40 offset1:80
	ds_read2_b64 v[71:74], v68 offset0:120 offset1:160
	;; [unrolled: 1-line block ×6, first 2 shown]
	s_waitcnt vmcnt(11) lgkmcnt(5)
	v_mul_f32_e32 v117, v33, v92
	v_mul_f32_e32 v115, v32, v92
	s_waitcnt vmcnt(10)
	v_mul_f32_e32 v118, v35, v94
	v_mul_f32_e32 v92, v34, v94
	s_waitcnt vmcnt(9) lgkmcnt(4)
	v_mul_f32_e32 v119, v72, v96
	v_mul_f32_e32 v94, v71, v96
	s_waitcnt vmcnt(8)
	v_mul_f32_e32 v120, v74, v98
	v_mul_f32_e32 v96, v73, v98
	;; [unrolled: 6-line block ×6, first 2 shown]
	v_fma_f32 v114, v32, v91, -v117
	v_fmac_f32_e32 v115, v33, v91
	v_fma_f32 v91, v34, v93, -v118
	v_fmac_f32_e32 v92, v35, v93
	;; [unrolled: 2-line block ×12, first 2 shown]
	ds_write2_b64 v68, v[114:115], v[91:92] offset0:40 offset1:80
	ds_write2_b64 v68, v[93:94], v[95:96] offset0:120 offset1:160
	;; [unrolled: 1-line block ×6, first 2 shown]
.LBB0_13:
	s_or_b64 exec, exec, s[8:9]
	s_waitcnt lgkmcnt(0)
	; wave barrier
	s_waitcnt lgkmcnt(0)
	s_and_saveexec_b64 s[8:9], s[0:1]
	s_cbranch_execz .LBB0_15
; %bb.14:
	v_add_u32_e32 v32, 0x400, v68
	ds_read2_b64 v[28:31], v68 offset1:40
	ds_read2_b64 v[36:39], v68 offset0:80 offset1:120
	ds_read2_b64 v[44:47], v68 offset0:160 offset1:200
	;; [unrolled: 1-line block ×3, first 2 shown]
	v_add_u32_e32 v32, 0x800, v68
	ds_read2_b64 v[48:51], v32 offset0:64 offset1:104
	ds_read2_b64 v[52:55], v32 offset0:144 offset1:184
	ds_read_b64 v[57:58], v68 offset:3840
.LBB0_15:
	s_or_b64 exec, exec, s[8:9]
	s_waitcnt lgkmcnt(0)
	v_sub_f32_e32 v82, v31, v58
	v_add_f32_e32 v71, v57, v30
	v_add_f32_e32 v85, v58, v31
	s_mov_b32 s10, 0x3f116cb1
	v_mul_f32_e32 v87, 0xbf52af12, v82
	v_sub_f32_e32 v84, v37, v55
	v_mul_f32_e32 v90, 0x3f116cb1, v85
	v_fma_f32 v32, v71, s10, -v87
	v_add_f32_e32 v72, v54, v36
	v_add_f32_e32 v88, v55, v37
	s_mov_b32 s16, 0xbeb58ec6
	v_mul_f32_e32 v92, 0xbf6f5d39, v84
	v_sub_f32_e32 v73, v30, v57
	v_add_f32_e32 v32, v28, v32
	v_mov_b32_e32 v33, v90
	v_mul_f32_e32 v95, 0xbeb58ec6, v88
	v_fma_f32 v75, v72, s16, -v92
	v_fmac_f32_e32 v33, 0xbf52af12, v73
	s_mov_b32 s11, 0x3df6dbef
	v_mul_f32_e32 v96, 0xbf7e222b, v82
	v_sub_f32_e32 v74, v36, v54
	v_add_f32_e32 v32, v75, v32
	v_mov_b32_e32 v75, v95
	v_add_f32_e32 v33, v29, v33
	v_mul_f32_e32 v99, 0x3df6dbef, v85
	v_fma_f32 v34, v71, s11, -v96
	v_fmac_f32_e32 v75, 0xbf6f5d39, v74
	s_mov_b32 s17, 0xbf788fa5
	v_mul_f32_e32 v102, 0xbe750f2a, v84
	v_add_f32_e32 v34, v28, v34
	v_mov_b32_e32 v35, v99
	v_add_f32_e32 v33, v75, v33
	v_mul_f32_e32 v105, 0xbf788fa5, v88
	v_fma_f32 v75, v72, s17, -v102
	v_fmac_f32_e32 v35, 0xbf7e222b, v73
	v_add_f32_e32 v34, v75, v34
	v_mov_b32_e32 v75, v105
	v_add_f32_e32 v35, v29, v35
	v_fmac_f32_e32 v75, 0xbe750f2a, v74
	v_sub_f32_e32 v86, v39, v53
	v_add_f32_e32 v35, v75, v35
	v_add_f32_e32 v75, v52, v38
	;; [unrolled: 1-line block ×3, first 2 shown]
	v_mul_f32_e32 v97, 0xbe750f2a, v86
	v_mul_f32_e32 v101, 0xbf788fa5, v91
	v_fma_f32 v76, v75, s17, -v97
	v_sub_f32_e32 v77, v38, v52
	v_add_f32_e32 v32, v76, v32
	v_mov_b32_e32 v76, v101
	v_fmac_f32_e32 v76, 0xbe750f2a, v77
	v_mul_f32_e32 v107, 0x3f6f5d39, v86
	v_add_f32_e32 v33, v76, v33
	v_mul_f32_e32 v109, 0xbeb58ec6, v91
	v_fma_f32 v76, v75, s16, -v107
	v_add_f32_e32 v34, v76, v34
	v_mov_b32_e32 v76, v109
	v_fmac_f32_e32 v76, 0x3f6f5d39, v77
	v_sub_f32_e32 v89, v45, v51
	v_add_f32_e32 v35, v76, v35
	v_add_f32_e32 v76, v50, v44
	;; [unrolled: 1-line block ×3, first 2 shown]
	s_mov_b32 s18, 0xbf3f9e67
	v_mul_f32_e32 v103, 0x3f29c268, v89
	v_mul_f32_e32 v106, 0xbf3f9e67, v94
	v_fma_f32 v79, v76, s18, -v103
	v_sub_f32_e32 v78, v44, v50
	v_add_f32_e32 v32, v79, v32
	v_mov_b32_e32 v79, v106
	v_fmac_f32_e32 v79, 0x3f29c268, v78
	s_mov_b32 s19, 0x3f62ad3f
	v_mul_f32_e32 v111, 0x3eedf032, v89
	v_add_f32_e32 v33, v79, v33
	v_mul_f32_e32 v113, 0x3f62ad3f, v94
	v_fma_f32 v79, v76, s19, -v111
	v_add_f32_e32 v34, v79, v34
	v_mov_b32_e32 v79, v113
	v_fmac_f32_e32 v79, 0x3eedf032, v78
	v_sub_f32_e32 v93, v47, v49
	v_add_f32_e32 v35, v79, v35
	v_add_f32_e32 v79, v48, v46
	;; [unrolled: 1-line block ×3, first 2 shown]
	v_mul_f32_e32 v108, 0x3f7e222b, v93
	v_mul_f32_e32 v110, 0x3df6dbef, v100
	v_fma_f32 v81, v79, s11, -v108
	v_sub_f32_e32 v80, v46, v48
	v_add_f32_e32 v32, v81, v32
	v_mov_b32_e32 v81, v110
	v_fmac_f32_e32 v81, 0x3f7e222b, v80
	v_mul_f32_e32 v115, 0xbf52af12, v93
	v_add_f32_e32 v33, v81, v33
	v_mul_f32_e32 v116, 0x3f116cb1, v100
	v_fma_f32 v81, v79, s10, -v115
	v_add_f32_e32 v119, v81, v34
	v_mov_b32_e32 v34, v116
	v_sub_f32_e32 v98, v41, v43
	v_fmac_f32_e32 v34, 0xbf52af12, v80
	v_add_f32_e32 v81, v42, v40
	v_add_f32_e32 v104, v43, v41
	v_mul_f32_e32 v112, 0x3eedf032, v98
	v_add_f32_e32 v120, v34, v35
	v_mul_f32_e32 v114, 0x3f62ad3f, v104
	v_fma_f32 v34, v81, s19, -v112
	v_sub_f32_e32 v83, v40, v42
	v_add_f32_e32 v34, v34, v32
	v_mov_b32_e32 v32, v114
	v_fmac_f32_e32 v32, 0x3eedf032, v83
	v_mul_f32_e32 v118, 0xbf3f9e67, v104
	v_add_f32_e32 v35, v32, v33
	v_mul_f32_e32 v117, 0xbf29c268, v98
	v_mov_b32_e32 v33, v118
	v_fma_f32 v32, v81, s18, -v117
	v_fmac_f32_e32 v33, 0xbf29c268, v83
	v_add_f32_e32 v32, v32, v119
	v_add_f32_e32 v33, v33, v120
	s_waitcnt lgkmcnt(0)
	; wave barrier
	s_and_saveexec_b64 s[8:9], s[0:1]
	s_cbranch_execz .LBB0_17
; %bb.16:
	v_mul_f32_e32 v127, 0xbf6f5d39, v73
	v_mov_b32_e32 v119, v127
	v_mul_f32_e32 v128, 0x3f29c268, v74
	v_fmac_f32_e32 v119, 0xbeb58ec6, v85
	v_mov_b32_e32 v120, v128
	v_add_f32_e32 v119, v29, v119
	v_fmac_f32_e32 v120, 0xbf3f9e67, v88
	v_mul_f32_e32 v153, 0x3eedf032, v77
	v_add_f32_e32 v119, v120, v119
	v_mov_b32_e32 v120, v153
	v_fmac_f32_e32 v120, 0x3f62ad3f, v91
	v_mul_f32_e32 v154, 0xbf7e222b, v78
	v_add_f32_e32 v119, v120, v119
	v_mov_b32_e32 v120, v154
	;; [unrolled: 4-line block ×4, first 2 shown]
	v_fmac_f32_e32 v120, 0x3f116cb1, v104
	v_mul_f32_e32 v157, 0xbf6f5d39, v82
	v_add_f32_e32 v120, v120, v119
	v_fma_f32 v119, v71, s16, -v157
	v_mul_f32_e32 v158, 0x3f29c268, v84
	v_add_f32_e32 v119, v28, v119
	v_fma_f32 v121, v72, s18, -v158
	;; [unrolled: 3-line block ×6, first 2 shown]
	v_mul_f32_e32 v125, 0xbf29c268, v73
	v_add_f32_e32 v119, v121, v119
	v_mov_b32_e32 v121, v125
	v_mul_f32_e32 v126, 0x3f7e222b, v74
	v_fmac_f32_e32 v121, 0xbf3f9e67, v85
	v_mov_b32_e32 v122, v126
	v_add_f32_e32 v121, v29, v121
	v_fmac_f32_e32 v122, 0x3df6dbef, v88
	v_mul_f32_e32 v163, 0xbf52af12, v77
	v_mul_f32_e32 v132, 0xbf7e222b, v73
	v_add_f32_e32 v121, v122, v121
	v_mov_b32_e32 v122, v163
	v_mul_f32_e32 v136, 0xbe750f2a, v74
	v_fmac_f32_e32 v122, 0x3f116cb1, v91
	v_mul_f32_e32 v164, 0x3e750f2a, v78
	v_sub_f32_e32 v99, v99, v132
	v_mul_f32_e32 v140, 0x3f6f5d39, v77
	v_add_f32_e32 v121, v122, v121
	v_mov_b32_e32 v122, v164
	v_add_f32_e32 v99, v29, v99
	v_sub_f32_e32 v105, v105, v136
	v_mul_f32_e32 v144, 0x3eedf032, v78
	v_fmac_f32_e32 v122, 0xbf788fa5, v94
	v_mul_f32_e32 v165, 0x3eedf032, v80
	v_add_f32_e32 v99, v105, v99
	v_sub_f32_e32 v105, v109, v140
	v_mul_f32_e32 v148, 0xbf52af12, v80
	v_add_f32_e32 v121, v122, v121
	v_mov_b32_e32 v122, v165
	v_add_f32_e32 v99, v105, v99
	v_sub_f32_e32 v105, v113, v144
	v_mul_f32_e32 v130, 0xbf52af12, v73
	v_mul_f32_e32 v131, 0x3df6dbef, v71
	v_mul_f32_e32 v152, 0xbf29c268, v83
	v_fmac_f32_e32 v122, 0x3f62ad3f, v100
	v_mul_f32_e32 v166, 0xbf6f5d39, v83
	v_add_f32_e32 v99, v105, v99
	v_sub_f32_e32 v105, v116, v148
	v_mul_f32_e32 v134, 0xbf6f5d39, v74
	v_mul_f32_e32 v135, 0xbf788fa5, v72
	v_add_f32_e32 v121, v122, v121
	v_mov_b32_e32 v122, v166
	v_add_f32_e32 v99, v105, v99
	v_sub_f32_e32 v105, v118, v152
	v_add_f32_e32 v96, v131, v96
	v_sub_f32_e32 v90, v90, v130
	v_mul_f32_e32 v138, 0xbe750f2a, v77
	v_mul_f32_e32 v139, 0xbeb58ec6, v75
	v_fmac_f32_e32 v122, 0xbeb58ec6, v104
	v_mul_f32_e32 v167, 0xbf29c268, v82
	v_add_f32_e32 v116, v105, v99
	v_add_f32_e32 v96, v28, v96
	;; [unrolled: 1-line block ×4, first 2 shown]
	v_sub_f32_e32 v95, v95, v134
	v_mul_f32_e32 v142, 0x3f29c268, v78
	v_mul_f32_e32 v143, 0x3f62ad3f, v76
	v_add_f32_e32 v122, v122, v121
	v_fma_f32 v121, v71, s18, -v167
	v_mul_f32_e32 v168, 0x3f7e222b, v84
	v_add_f32_e32 v96, v99, v96
	v_add_f32_e32 v99, v139, v107
	;; [unrolled: 1-line block ×3, first 2 shown]
	v_sub_f32_e32 v95, v101, v138
	v_mul_f32_e32 v146, 0x3f7e222b, v80
	v_mul_f32_e32 v147, 0x3f116cb1, v79
	v_add_f32_e32 v121, v28, v121
	v_fma_f32 v123, v72, s11, -v168
	v_mul_f32_e32 v169, 0xbf52af12, v86
	v_add_f32_e32 v96, v99, v96
	v_add_f32_e32 v99, v143, v111
	;; [unrolled: 1-line block ×3, first 2 shown]
	v_sub_f32_e32 v95, v106, v142
	v_mul_f32_e32 v129, 0x3f116cb1, v71
	v_mul_f32_e32 v150, 0x3eedf032, v83
	;; [unrolled: 1-line block ×3, first 2 shown]
	v_add_f32_e32 v121, v123, v121
	v_fma_f32 v123, v75, s10, -v169
	v_mul_f32_e32 v170, 0x3e750f2a, v89
	v_add_f32_e32 v96, v99, v96
	v_add_f32_e32 v99, v147, v115
	;; [unrolled: 1-line block ×3, first 2 shown]
	v_sub_f32_e32 v95, v110, v146
	v_mul_f32_e32 v133, 0xbeb58ec6, v72
	v_add_f32_e32 v121, v123, v121
	v_fma_f32 v123, v76, s17, -v170
	v_mul_f32_e32 v171, 0x3eedf032, v93
	v_add_f32_e32 v96, v99, v96
	v_add_f32_e32 v99, v151, v117
	;; [unrolled: 1-line block ×3, first 2 shown]
	v_sub_f32_e32 v95, v114, v150
	v_add_f32_e32 v87, v129, v87
	v_mul_f32_e32 v137, 0xbf788fa5, v75
	v_add_f32_e32 v121, v123, v121
	v_fma_f32 v123, v79, s19, -v171
	v_mul_f32_e32 v172, 0xbf6f5d39, v98
	v_add_f32_e32 v115, v99, v96
	v_add_f32_e32 v96, v95, v90
	;; [unrolled: 1-line block ×4, first 2 shown]
	v_mul_f32_e32 v141, 0xbf3f9e67, v76
	v_add_f32_e32 v121, v123, v121
	v_fma_f32 v123, v81, s16, -v172
	v_mul_f32_e32 v173, 0xbf788fa5, v85
	v_add_f32_e32 v87, v90, v87
	v_add_f32_e32 v90, v137, v97
	v_mul_f32_e32 v145, 0x3df6dbef, v79
	v_add_f32_e32 v121, v123, v121
	v_mov_b32_e32 v123, v173
	v_mul_f32_e32 v174, 0x3f62ad3f, v88
	v_add_f32_e32 v87, v90, v87
	v_add_f32_e32 v90, v141, v103
	v_mul_f32_e32 v149, 0x3f62ad3f, v81
	v_fmac_f32_e32 v123, 0x3e750f2a, v73
	v_mov_b32_e32 v124, v174
	v_add_f32_e32 v87, v90, v87
	v_add_f32_e32 v90, v145, v108
	;; [unrolled: 1-line block ×3, first 2 shown]
	v_fmac_f32_e32 v124, 0xbeedf032, v74
	v_mul_f32_e32 v175, 0xbf3f9e67, v91
	v_add_f32_e32 v87, v90, v87
	v_add_f32_e32 v90, v149, v112
	;; [unrolled: 1-line block ×3, first 2 shown]
	v_mov_b32_e32 v124, v175
	v_add_f32_e32 v95, v90, v87
	v_mul_f32_e32 v87, 0x3f62ad3f, v85
	v_fmac_f32_e32 v124, 0x3f29c268, v77
	v_mul_f32_e32 v176, 0x3f116cb1, v94
	v_fma_f32 v125, v85, s18, -v125
	v_fma_f32 v126, v88, s11, -v126
	;; [unrolled: 1-line block ×4, first 2 shown]
	v_mov_b32_e32 v85, v87
	v_mul_f32_e32 v88, 0x3f116cb1, v88
	v_add_f32_e32 v123, v124, v123
	v_mov_b32_e32 v124, v176
	v_fmac_f32_e32 v85, 0x3eedf032, v73
	v_mov_b32_e32 v90, v88
	v_fmac_f32_e32 v124, 0xbf52af12, v78
	v_mul_f32_e32 v177, 0xbeb58ec6, v100
	v_add_f32_e32 v85, v29, v85
	v_fmac_f32_e32 v90, 0x3f52af12, v74
	v_add_f32_e32 v123, v124, v123
	v_mov_b32_e32 v124, v177
	v_add_f32_e32 v125, v29, v125
	v_add_f32_e32 v127, v29, v127
	;; [unrolled: 1-line block ×3, first 2 shown]
	v_mul_f32_e32 v90, 0x3df6dbef, v91
	v_fmac_f32_e32 v124, 0x3f6f5d39, v80
	v_mul_f32_e32 v178, 0x3df6dbef, v104
	v_add_f32_e32 v125, v126, v125
	v_fma_f32 v126, v91, s10, -v163
	v_add_f32_e32 v127, v128, v127
	v_fma_f32 v128, v91, s19, -v153
	v_mov_b32_e32 v91, v90
	v_add_f32_e32 v123, v124, v123
	v_mov_b32_e32 v124, v178
	v_fmac_f32_e32 v91, 0x3f7e222b, v77
	v_fmac_f32_e32 v124, 0xbf7e222b, v83
	v_mul_f32_e32 v179, 0xbe750f2a, v82
	v_add_f32_e32 v85, v91, v85
	v_mul_f32_e32 v91, 0xbeb58ec6, v94
	v_add_f32_e32 v124, v124, v123
	v_mov_b32_e32 v123, v179
	v_mul_f32_e32 v180, 0x3eedf032, v84
	v_mov_b32_e32 v92, v91
	v_fmac_f32_e32 v123, 0xbf788fa5, v71
	v_mov_b32_e32 v181, v180
	v_fmac_f32_e32 v92, 0x3f6f5d39, v78
	v_add_f32_e32 v123, v28, v123
	v_fmac_f32_e32 v181, 0x3f62ad3f, v72
	v_add_f32_e32 v85, v92, v85
	v_mul_f32_e32 v92, 0xbf3f9e67, v100
	v_add_f32_e32 v30, v30, v28
	v_fmac_f32_e32 v173, 0xbe750f2a, v73
	v_add_f32_e32 v123, v181, v123
	v_mul_f32_e32 v181, 0xbf29c268, v86
	v_add_f32_e32 v125, v126, v125
	v_fma_f32 v126, v94, s17, -v164
	v_add_f32_e32 v127, v128, v127
	v_fma_f32 v128, v94, s11, -v154
	v_mov_b32_e32 v94, v92
	v_add_f32_e32 v30, v36, v30
	v_add_f32_e32 v36, v29, v173
	v_fmac_f32_e32 v174, 0x3eedf032, v74
	v_mov_b32_e32 v182, v181
	v_fmac_f32_e32 v94, 0x3f29c268, v80
	v_add_f32_e32 v36, v174, v36
	v_fmac_f32_e32 v175, 0xbf29c268, v77
	v_fmac_f32_e32 v182, 0xbf3f9e67, v75
	v_add_f32_e32 v85, v94, v85
	v_mul_f32_e32 v94, 0xbf788fa5, v104
	v_add_f32_e32 v36, v175, v36
	v_fmac_f32_e32 v176, 0x3f52af12, v78
	v_add_f32_e32 v123, v182, v123
	v_mul_f32_e32 v182, 0x3f52af12, v89
	v_mov_b32_e32 v97, v94
	v_add_f32_e32 v36, v176, v36
	v_fmac_f32_e32 v177, 0xbf6f5d39, v80
	v_mov_b32_e32 v183, v182
	v_fmac_f32_e32 v97, 0x3e750f2a, v83
	v_mul_f32_e32 v82, 0xbeedf032, v82
	v_add_f32_e32 v31, v31, v29
	v_add_f32_e32 v36, v177, v36
	v_fmac_f32_e32 v178, 0x3f7e222b, v83
	v_fmac_f32_e32 v183, 0x3f116cb1, v76
	v_add_f32_e32 v85, v97, v85
	v_mov_b32_e32 v97, v82
	v_mul_f32_e32 v99, 0xbf52af12, v84
	v_add_f32_e32 v31, v37, v31
	v_add_f32_e32 v37, v178, v36
	v_fma_f32 v36, v71, s17, -v179
	v_add_f32_e32 v123, v183, v123
	v_mul_f32_e32 v183, 0xbf6f5d39, v93
	v_fmac_f32_e32 v97, 0x3f62ad3f, v71
	v_mov_b32_e32 v84, v99
	v_add_f32_e32 v30, v38, v30
	v_add_f32_e32 v36, v28, v36
	v_fma_f32 v38, v72, s19, -v180
	v_mov_b32_e32 v184, v183
	v_add_f32_e32 v97, v28, v97
	v_fmac_f32_e32 v84, 0x3f116cb1, v72
	v_mul_f32_e32 v86, 0xbf7e222b, v86
	v_add_f32_e32 v36, v38, v36
	v_fma_f32 v38, v75, s18, -v181
	v_fmac_f32_e32 v184, 0xbeb58ec6, v79
	v_add_f32_e32 v84, v84, v97
	v_mov_b32_e32 v97, v86
	v_add_f32_e32 v31, v39, v31
	v_add_f32_e32 v36, v38, v36
	v_fma_f32 v38, v76, s10, -v182
	v_add_f32_e32 v123, v184, v123
	v_mul_f32_e32 v184, 0x3f7e222b, v98
	v_fmac_f32_e32 v97, 0x3df6dbef, v75
	v_mul_f32_e32 v89, 0xbf6f5d39, v89
	v_add_f32_e32 v31, v45, v31
	v_add_f32_e32 v30, v44, v30
	;; [unrolled: 1-line block ×3, first 2 shown]
	v_fma_f32 v38, v79, s16, -v183
	v_add_f32_e32 v125, v126, v125
	v_fma_f32 v126, v100, s19, -v165
	v_add_f32_e32 v127, v128, v127
	v_fma_f32 v128, v100, s17, -v155
	v_add_f32_e32 v84, v97, v84
	v_mov_b32_e32 v97, v89
	v_add_f32_e32 v31, v47, v31
	v_add_f32_e32 v30, v46, v30
	;; [unrolled: 1-line block ×3, first 2 shown]
	v_fma_f32 v38, v81, s11, -v184
	v_add_f32_e32 v125, v126, v125
	v_fma_f32 v126, v104, s16, -v166
	v_fmac_f32_e32 v167, 0xbf3f9e67, v71
	v_add_f32_e32 v127, v128, v127
	v_fma_f32 v128, v104, s10, -v156
	v_fmac_f32_e32 v157, 0xbeb58ec6, v71
	v_fmac_f32_e32 v97, 0xbeb58ec6, v76
	v_mul_f32_e32 v93, 0xbf29c268, v93
	v_add_f32_e32 v31, v41, v31
	v_add_f32_e32 v30, v40, v30
	v_add_f32_e32 v36, v38, v36
	v_fma_f32 v38, v71, s19, -v82
	v_add_f32_e32 v126, v126, v125
	v_add_f32_e32 v125, v28, v167
	;; [unrolled: 1-line block ×5, first 2 shown]
	v_mov_b32_e32 v97, v93
	v_add_f32_e32 v31, v43, v31
	v_add_f32_e32 v30, v42, v30
	v_fmac_f32_e32 v87, 0xbeedf032, v73
	v_add_f32_e32 v28, v28, v38
	v_fma_f32 v38, v72, s10, -v99
	v_fmac_f32_e32 v168, 0x3df6dbef, v72
	v_fmac_f32_e32 v158, 0xbf3f9e67, v72
	;; [unrolled: 1-line block ×3, first 2 shown]
	v_add_f32_e32 v31, v49, v31
	v_add_f32_e32 v30, v48, v30
	;; [unrolled: 1-line block ×3, first 2 shown]
	v_fmac_f32_e32 v88, 0xbf52af12, v74
	v_add_f32_e32 v28, v38, v28
	v_fma_f32 v38, v75, s11, -v86
	v_add_f32_e32 v125, v168, v125
	v_fmac_f32_e32 v169, 0x3f116cb1, v75
	v_add_f32_e32 v127, v158, v127
	v_fmac_f32_e32 v159, 0x3f62ad3f, v75
	v_add_f32_e32 v84, v97, v84
	v_mul_f32_e32 v97, 0xbe750f2a, v98
	v_add_f32_e32 v31, v51, v31
	v_add_f32_e32 v30, v50, v30
	;; [unrolled: 1-line block ×3, first 2 shown]
	v_fmac_f32_e32 v90, 0xbf7e222b, v77
	v_add_f32_e32 v28, v38, v28
	v_fma_f32 v38, v76, s16, -v89
	v_add_f32_e32 v125, v169, v125
	v_fmac_f32_e32 v170, 0xbf788fa5, v76
	v_add_f32_e32 v127, v159, v127
	v_fmac_f32_e32 v160, 0x3df6dbef, v76
	v_mov_b32_e32 v98, v97
	v_add_f32_e32 v31, v53, v31
	v_add_f32_e32 v30, v52, v30
	;; [unrolled: 1-line block ×3, first 2 shown]
	v_fmac_f32_e32 v91, 0xbf6f5d39, v78
	v_add_f32_e32 v28, v38, v28
	v_fma_f32 v38, v79, s18, -v93
	v_mov_b32_e32 v185, v184
	v_add_f32_e32 v125, v170, v125
	v_fmac_f32_e32 v171, 0x3f62ad3f, v79
	v_add_f32_e32 v127, v160, v127
	v_fmac_f32_e32 v161, 0xbf788fa5, v79
	v_fmac_f32_e32 v98, 0xbf788fa5, v81
	v_add_f32_e32 v31, v55, v31
	v_add_f32_e32 v30, v54, v30
	;; [unrolled: 1-line block ×3, first 2 shown]
	v_fmac_f32_e32 v92, 0xbf29c268, v80
	v_add_f32_e32 v28, v38, v28
	v_fma_f32 v38, v81, s17, -v97
	v_fmac_f32_e32 v185, 0x3df6dbef, v81
	v_add_f32_e32 v125, v171, v125
	v_fmac_f32_e32 v172, 0xbeb58ec6, v81
	v_add_f32_e32 v127, v161, v127
	;; [unrolled: 2-line block ×3, first 2 shown]
	v_add_f32_e32 v31, v58, v31
	v_add_f32_e32 v30, v57, v30
	;; [unrolled: 1-line block ×3, first 2 shown]
	v_fmac_f32_e32 v94, 0xbe750f2a, v83
	v_add_f32_e32 v28, v38, v28
	v_lshlrev_b32_e32 v38, 3, v69
	v_add_f32_e32 v123, v185, v123
	v_add_f32_e32 v125, v172, v125
	;; [unrolled: 1-line block ×4, first 2 shown]
	ds_write2_b64 v38, v[30:31], v[84:85] offset1:1
	ds_write2_b64 v38, v[95:96], v[115:116] offset0:2 offset1:3
	ds_write2_b64 v38, v[127:128], v[125:126] offset0:4 offset1:5
	;; [unrolled: 1-line block ×5, first 2 shown]
	ds_write_b64 v38, v[28:29] offset:96
.LBB0_17:
	s_or_b64 exec, exec, s[8:9]
	s_waitcnt lgkmcnt(0)
	; wave barrier
	s_waitcnt lgkmcnt(0)
	ds_read2_b64 v[28:31], v68 offset1:52
	ds_read2_b64 v[37:40], v68 offset0:104 offset1:156
	v_add_u32_e32 v36, 0x400, v68
	ds_read2_b64 v[41:44], v36 offset0:80 offset1:132
	v_add_u32_e32 v36, 0x800, v68
	s_waitcnt lgkmcnt(2)
	v_mul_f32_e32 v53, v13, v31
	v_mul_f32_e32 v13, v13, v30
	ds_read2_b64 v[45:48], v36 offset0:56 offset1:108
	ds_read2_b64 v[49:52], v36 offset0:160 offset1:212
	v_fmac_f32_e32 v53, v12, v30
	v_fma_f32 v13, v12, v31, -v13
	s_waitcnt lgkmcnt(3)
	v_mul_f32_e32 v12, v15, v38
	v_mul_f32_e32 v15, v15, v37
	v_fmac_f32_e32 v12, v14, v37
	v_fma_f32 v14, v14, v38, -v15
	v_mul_f32_e32 v15, v9, v40
	v_mul_f32_e32 v9, v9, v39
	v_fmac_f32_e32 v15, v8, v39
	v_fma_f32 v8, v8, v40, -v9
	s_waitcnt lgkmcnt(2)
	v_mul_f32_e32 v9, v11, v42
	v_mul_f32_e32 v11, v11, v41
	v_fmac_f32_e32 v9, v10, v41
	v_fma_f32 v10, v10, v42, -v11
	v_mul_f32_e32 v11, v5, v44
	v_mul_f32_e32 v5, v5, v43
	;; [unrolled: 9-line block ×3, first 2 shown]
	v_fmac_f32_e32 v7, v0, v47
	v_fma_f32 v0, v0, v48, -v1
	s_waitcnt lgkmcnt(0)
	v_mul_f32_e32 v1, v3, v50
	v_mul_f32_e32 v3, v3, v49
	v_add_f32_e32 v37, v9, v5
	v_fmac_f32_e32 v1, v2, v49
	v_fma_f32 v2, v2, v50, -v3
	v_fma_f32 v37, -0.5, v37, v28
	v_sub_f32_e32 v38, v14, v2
	v_mov_b32_e32 v39, v37
	v_fmac_f32_e32 v39, 0xbf737871, v38
	v_sub_f32_e32 v40, v10, v6
	v_sub_f32_e32 v41, v12, v9
	;; [unrolled: 1-line block ×3, first 2 shown]
	v_fmac_f32_e32 v37, 0x3f737871, v38
	v_fmac_f32_e32 v39, 0xbf167918, v40
	v_add_f32_e32 v41, v41, v42
	v_fmac_f32_e32 v37, 0x3f167918, v40
	v_fmac_f32_e32 v39, 0x3e9e377a, v41
	;; [unrolled: 1-line block ×3, first 2 shown]
	v_add_f32_e32 v41, v12, v1
	v_fma_f32 v41, -0.5, v41, v28
	v_mov_b32_e32 v42, v41
	v_add_f32_e32 v31, v28, v12
	v_fmac_f32_e32 v42, 0x3f737871, v40
	v_sub_f32_e32 v28, v9, v12
	v_sub_f32_e32 v43, v5, v1
	v_fmac_f32_e32 v41, 0xbf737871, v40
	v_fmac_f32_e32 v42, 0xbf167918, v38
	v_add_f32_e32 v28, v28, v43
	v_fmac_f32_e32 v41, 0x3f167918, v38
	v_fmac_f32_e32 v42, 0x3e9e377a, v28
	;; [unrolled: 1-line block ×3, first 2 shown]
	v_add_f32_e32 v28, v29, v14
	v_add_f32_e32 v28, v28, v10
	v_add_f32_e32 v28, v28, v6
	v_add_f32_e32 v31, v31, v9
	v_add_f32_e32 v38, v28, v2
	v_add_f32_e32 v28, v10, v6
	v_add_f32_e32 v31, v31, v5
	v_fma_f32 v40, -0.5, v28, v29
	v_add_f32_e32 v31, v31, v1
	v_sub_f32_e32 v1, v12, v1
	v_mov_b32_e32 v43, v40
	v_fmac_f32_e32 v43, 0x3f737871, v1
	v_sub_f32_e32 v5, v9, v5
	v_sub_f32_e32 v9, v14, v10
	v_sub_f32_e32 v12, v2, v6
	v_fmac_f32_e32 v40, 0xbf737871, v1
	v_fmac_f32_e32 v43, 0x3f167918, v5
	v_add_f32_e32 v9, v9, v12
	v_fmac_f32_e32 v40, 0xbf167918, v5
	v_fmac_f32_e32 v43, 0x3e9e377a, v9
	;; [unrolled: 1-line block ×3, first 2 shown]
	v_add_f32_e32 v9, v14, v2
	v_fma_f32 v44, -0.5, v9, v29
	v_mov_b32_e32 v45, v44
	v_fmac_f32_e32 v45, 0xbf737871, v5
	v_sub_f32_e32 v9, v10, v14
	v_sub_f32_e32 v2, v6, v2
	v_fmac_f32_e32 v44, 0x3f737871, v5
	v_fmac_f32_e32 v45, 0x3f167918, v1
	v_add_f32_e32 v2, v9, v2
	v_fmac_f32_e32 v44, 0xbf167918, v1
	v_mul_f32_e32 v30, v60, v51
	v_fmac_f32_e32 v45, 0x3e9e377a, v2
	v_fmac_f32_e32 v44, 0x3e9e377a, v2
	v_add_f32_e32 v2, v11, v7
	v_mul_f32_e32 v3, v60, v52
	v_fma_f32 v30, v59, v52, -v30
	v_fma_f32 v2, -0.5, v2, v53
	v_fmac_f32_e32 v3, v59, v51
	v_sub_f32_e32 v5, v8, v30
	v_mov_b32_e32 v9, v2
	v_fmac_f32_e32 v9, 0xbf737871, v5
	v_sub_f32_e32 v6, v4, v0
	v_sub_f32_e32 v10, v15, v11
	;; [unrolled: 1-line block ×3, first 2 shown]
	v_fmac_f32_e32 v2, 0x3f737871, v5
	v_fmac_f32_e32 v9, 0xbf167918, v6
	v_add_f32_e32 v10, v10, v12
	v_fmac_f32_e32 v2, 0x3f167918, v6
	v_fmac_f32_e32 v9, 0x3e9e377a, v10
	;; [unrolled: 1-line block ×3, first 2 shown]
	v_add_f32_e32 v10, v15, v3
	v_add_f32_e32 v1, v53, v15
	v_fmac_f32_e32 v53, -0.5, v10
	v_mov_b32_e32 v14, v53
	v_fmac_f32_e32 v14, 0x3f737871, v6
	v_fmac_f32_e32 v53, 0xbf737871, v6
	;; [unrolled: 1-line block ×4, first 2 shown]
	v_add_f32_e32 v5, v13, v8
	v_add_f32_e32 v5, v5, v4
	;; [unrolled: 1-line block ×7, first 2 shown]
	v_fma_f32 v28, -0.5, v5, v13
	v_add_f32_e32 v1, v1, v3
	v_sub_f32_e32 v10, v11, v15
	v_sub_f32_e32 v12, v7, v3
	v_sub_f32_e32 v3, v15, v3
	v_mov_b32_e32 v15, v28
	v_fmac_f32_e32 v15, 0x3f737871, v3
	v_sub_f32_e32 v5, v11, v7
	v_sub_f32_e32 v6, v8, v4
	;; [unrolled: 1-line block ×3, first 2 shown]
	v_fmac_f32_e32 v28, 0xbf737871, v3
	v_fmac_f32_e32 v15, 0x3f167918, v5
	v_add_f32_e32 v6, v6, v7
	v_fmac_f32_e32 v28, 0xbf167918, v5
	v_fmac_f32_e32 v15, 0x3e9e377a, v6
	;; [unrolled: 1-line block ×3, first 2 shown]
	v_add_f32_e32 v6, v8, v30
	v_fmac_f32_e32 v13, -0.5, v6
	v_mov_b32_e32 v11, v13
	v_fmac_f32_e32 v11, 0xbf737871, v5
	v_sub_f32_e32 v4, v4, v8
	v_sub_f32_e32 v0, v0, v30
	v_fmac_f32_e32 v13, 0x3f737871, v5
	v_fmac_f32_e32 v11, 0x3f167918, v3
	v_add_f32_e32 v0, v4, v0
	v_fmac_f32_e32 v13, 0xbf167918, v3
	v_add_f32_e32 v10, v10, v12
	v_fmac_f32_e32 v11, 0x3e9e377a, v0
	v_fmac_f32_e32 v13, 0x3e9e377a, v0
	;; [unrolled: 1-line block ×4, first 2 shown]
	v_mul_f32_e32 v0, 0xbf167918, v15
	v_mul_f32_e32 v3, 0xbf737871, v11
	;; [unrolled: 1-line block ×8, first 2 shown]
	v_fmac_f32_e32 v0, 0x3f4f1bbd, v9
	v_fmac_f32_e32 v3, 0x3e9e377a, v14
	;; [unrolled: 1-line block ×8, first 2 shown]
	v_add_f32_e32 v4, v31, v1
	v_add_f32_e32 v6, v39, v0
	;; [unrolled: 1-line block ×10, first 2 shown]
	v_sub_f32_e32 v14, v31, v1
	v_sub_f32_e32 v28, v39, v0
	;; [unrolled: 1-line block ×10, first 2 shown]
	s_waitcnt lgkmcnt(0)
	; wave barrier
	ds_write2_b64 v70, v[4:5], v[6:7] offset1:13
	ds_write2_b64 v70, v[8:9], v[10:11] offset0:26 offset1:39
	ds_write2_b64 v70, v[12:13], v[14:15] offset0:52 offset1:65
	ds_write2_b64 v70, v[28:29], v[30:31] offset0:78 offset1:91
	ds_write2_b64 v70, v[0:1], v[2:3] offset0:104 offset1:117
	s_waitcnt lgkmcnt(0)
	; wave barrier
	s_waitcnt lgkmcnt(0)
	ds_read2_b64 v[4:7], v68 offset1:52
	ds_read2_b64 v[28:31], v68 offset0:130 offset1:182
	ds_read2_b64 v[12:15], v36 offset0:4 offset1:56
	;; [unrolled: 1-line block ×3, first 2 shown]
	s_and_saveexec_b64 s[8:9], s[2:3]
	s_cbranch_execz .LBB0_19
; %bb.18:
	ds_read2_b64 v[0:3], v68 offset0:104 offset1:234
	ds_read2_b64 v[32:35], v36 offset0:108 offset1:238
.LBB0_19:
	s_or_b64 exec, exec, s[8:9]
	s_waitcnt lgkmcnt(2)
	v_mul_f32_e32 v37, v21, v29
	v_mul_f32_e32 v21, v21, v28
	v_fmac_f32_e32 v37, v20, v28
	v_fma_f32 v20, v20, v29, -v21
	s_waitcnt lgkmcnt(1)
	v_mul_f32_e32 v21, v23, v13
	v_fmac_f32_e32 v21, v22, v12
	v_mul_f32_e32 v12, v23, v12
	v_fma_f32 v12, v22, v13, -v12
	s_waitcnt lgkmcnt(0)
	v_mul_f32_e32 v13, v64, v9
	v_fmac_f32_e32 v13, v63, v8
	v_mul_f32_e32 v8, v64, v8
	v_fma_f32 v8, v63, v9, -v8
	v_mul_f32_e32 v22, v25, v31
	v_mul_f32_e32 v9, v25, v30
	v_fmac_f32_e32 v22, v24, v30
	v_fma_f32 v23, v24, v31, -v9
	v_mul_f32_e32 v24, v27, v15
	v_mul_f32_e32 v9, v27, v14
	v_fmac_f32_e32 v24, v26, v14
	v_fma_f32 v14, v26, v15, -v9
	v_mul_f32_e32 v9, v66, v10
	v_mul_f32_e32 v15, v66, v11
	v_fma_f32 v25, v65, v11, -v9
	v_sub_f32_e32 v21, v4, v21
	v_sub_f32_e32 v26, v5, v12
	;; [unrolled: 1-line block ×4, first 2 shown]
	v_fmac_f32_e32 v15, v65, v10
	v_fma_f32 v9, v4, 2.0, -v21
	v_fma_f32 v10, v5, 2.0, -v26
	;; [unrolled: 1-line block ×4, first 2 shown]
	v_sub_f32_e32 v4, v9, v4
	v_sub_f32_e32 v5, v10, v5
	v_fma_f32 v8, v9, 2.0, -v4
	v_fma_f32 v9, v10, 2.0, -v5
	v_add_f32_e32 v10, v21, v12
	v_sub_f32_e32 v11, v26, v11
	v_fma_f32 v12, v21, 2.0, -v10
	v_fma_f32 v13, v26, 2.0, -v11
	v_sub_f32_e32 v24, v6, v24
	v_sub_f32_e32 v26, v7, v14
	;; [unrolled: 1-line block ×4, first 2 shown]
	v_fma_f32 v14, v6, 2.0, -v24
	v_fma_f32 v20, v7, 2.0, -v26
	;; [unrolled: 1-line block ×4, first 2 shown]
	v_sub_f32_e32 v6, v14, v6
	v_sub_f32_e32 v7, v20, v7
	v_fma_f32 v14, v14, 2.0, -v6
	v_fma_f32 v15, v20, 2.0, -v7
	v_add_f32_e32 v20, v24, v25
	v_sub_f32_e32 v21, v26, v21
	v_fma_f32 v22, v24, 2.0, -v20
	v_fma_f32 v23, v26, 2.0, -v21
	ds_write2_b64 v68, v[8:9], v[14:15] offset1:52
	ds_write2_b64 v68, v[12:13], v[22:23] offset0:130 offset1:182
	ds_write2_b64 v36, v[4:5], v[6:7] offset0:4 offset1:56
	;; [unrolled: 1-line block ×3, first 2 shown]
	s_and_saveexec_b64 s[8:9], s[2:3]
	s_cbranch_execz .LBB0_21
; %bb.20:
	v_mul_f32_e32 v4, v19, v32
	v_fma_f32 v4, v18, v33, -v4
	v_mul_f32_e32 v9, v17, v3
	v_sub_f32_e32 v7, v1, v4
	v_fmac_f32_e32 v9, v16, v2
	v_mul_f32_e32 v4, v62, v35
	v_mul_f32_e32 v2, v17, v2
	v_fmac_f32_e32 v4, v61, v34
	v_mul_f32_e32 v5, v19, v33
	v_fma_f32 v2, v16, v3, -v2
	v_mul_f32_e32 v3, v62, v34
	v_sub_f32_e32 v10, v9, v4
	v_fmac_f32_e32 v5, v18, v32
	v_fma_f32 v3, v61, v35, -v3
	v_sub_f32_e32 v4, v7, v10
	v_sub_f32_e32 v11, v0, v5
	;; [unrolled: 1-line block ×3, first 2 shown]
	v_fma_f32 v6, v7, 2.0, -v4
	v_fma_f32 v7, v1, 2.0, -v7
	;; [unrolled: 1-line block ×5, first 2 shown]
	v_add_f32_e32 v3, v11, v8
	v_sub_f32_e32 v1, v7, v1
	v_sub_f32_e32 v0, v2, v0
	v_fma_f32 v5, v11, 2.0, -v3
	v_fma_f32 v8, v7, 2.0, -v1
	;; [unrolled: 1-line block ×3, first 2 shown]
	v_add_u32_e32 v2, 0x800, v68
	ds_write2_b64 v68, v[7:8], v[5:6] offset0:104 offset1:234
	ds_write2_b64 v2, v[0:1], v[3:4] offset0:108 offset1:238
.LBB0_21:
	s_or_b64 exec, exec, s[8:9]
	s_waitcnt lgkmcnt(0)
	; wave barrier
	s_waitcnt lgkmcnt(0)
	s_and_b64 exec, exec, s[0:1]
	s_cbranch_execz .LBB0_23
; %bb.22:
	global_load_dwordx2 v[8:9], v68, s[12:13]
	global_load_dwordx2 v[10:11], v68, s[12:13] offset:320
	global_load_dwordx2 v[12:13], v68, s[12:13] offset:640
	;; [unrolled: 1-line block ×4, first 2 shown]
	ds_read_b64 v[18:19], v68
	ds_read2_b64 v[0:3], v68 offset0:40 offset1:80
	ds_read2_b64 v[4:7], v68 offset0:120 offset1:160
	global_load_dwordx2 v[24:25], v68, s[12:13] offset:1600
	global_load_dwordx2 v[26:27], v68, s[12:13] offset:1920
	;; [unrolled: 1-line block ×4, first 2 shown]
	v_mad_u64_u32 v[20:21], s[0:1], s6, v56, 0
	v_mad_u64_u32 v[22:23], s[2:3], s4, v67, 0
	s_mul_i32 s3, s5, 0x140
	s_mul_hi_u32 s6, s4, 0x140
	s_add_i32 s3, s6, s3
	v_mad_u64_u32 v[32:33], s[6:7], s7, v56, v[21:22]
	v_mov_b32_e32 v35, s15
	s_mul_i32 s2, s4, 0x140
	v_mov_b32_e32 v21, v32
	v_lshlrev_b64 v[20:21], 3, v[20:21]
	v_mov_b32_e32 v36, s3
	v_add_co_u32_e32 v38, vcc, s14, v20
	v_addc_co_u32_e32 v39, vcc, v35, v21, vcc
	s_mov_b32 s0, 0x1f81f820
	s_mov_b32 s1, 0x3f5f81f8
	v_mov_b32_e32 v37, s3
	s_waitcnt vmcnt(7) lgkmcnt(1)
	v_mul_f32_e32 v35, v1, v11
	v_mul_f32_e32 v11, v0, v11
	s_waitcnt vmcnt(5) lgkmcnt(0)
	v_mul_f32_e32 v40, v5, v15
	v_mul_f32_e32 v15, v4, v15
	s_waitcnt vmcnt(3)
	v_mad_u64_u32 v[33:34], s[6:7], s5, v67, v[23:24]
	v_mov_b32_e32 v34, s3
	v_fmac_f32_e32 v35, v0, v10
	v_mov_b32_e32 v23, v33
	v_lshlrev_b64 v[22:23], 3, v[22:23]
	v_fmac_f32_e32 v40, v4, v14
	v_add_co_u32_e32 v20, vcc, v38, v22
	v_addc_co_u32_e32 v21, vcc, v39, v23, vcc
	v_add_co_u32_e32 v22, vcc, s2, v20
	v_addc_co_u32_e32 v23, vcc, v21, v36, vcc
	;; [unrolled: 2-line block ×3, first 2 shown]
	v_mul_f32_e32 v34, v19, v9
	v_mul_f32_e32 v9, v18, v9
	v_mul_f32_e32 v36, v3, v13
	v_mul_f32_e32 v13, v2, v13
	v_fmac_f32_e32 v34, v18, v8
	v_fma_f32 v8, v8, v19, -v9
	v_fma_f32 v9, v10, v1, -v11
	v_fmac_f32_e32 v36, v2, v12
	v_fma_f32 v12, v12, v3, -v13
	v_cvt_f64_f32_e32 v[0:1], v34
	v_cvt_f64_f32_e32 v[2:3], v8
	v_fma_f32 v18, v14, v5, -v15
	v_cvt_f64_f32_e32 v[4:5], v35
	v_cvt_f64_f32_e32 v[8:9], v9
	;; [unrolled: 1-line block ×4, first 2 shown]
	v_mul_f64 v[0:1], v[0:1], s[0:1]
	v_mul_f64 v[2:3], v[2:3], s[0:1]
	;; [unrolled: 1-line block ×6, first 2 shown]
	v_cvt_f64_f32_e32 v[14:15], v40
	v_cvt_f64_f32_e32 v[18:19], v18
	v_cvt_f32_f64_e32 v0, v[0:1]
	v_cvt_f32_f64_e32 v1, v[2:3]
	v_mul_f64 v[14:15], v[14:15], s[0:1]
	v_mul_f64 v[18:19], v[18:19], s[0:1]
	v_cvt_f32_f64_e32 v2, v[4:5]
	v_cvt_f32_f64_e32 v3, v[8:9]
	;; [unrolled: 1-line block ×4, first 2 shown]
	global_store_dwordx2 v[20:21], v[0:1], off
	global_store_dwordx2 v[22:23], v[2:3], off
	;; [unrolled: 1-line block ×3, first 2 shown]
	v_mul_f32_e32 v0, v6, v17
	v_mul_f32_e32 v41, v7, v17
	v_fma_f32 v0, v16, v7, -v0
	v_fmac_f32_e32 v41, v6, v16
	v_cvt_f64_f32_e32 v[6:7], v0
	ds_read2_b64 v[0:3], v68 offset0:200 offset1:240
	v_cvt_f32_f64_e32 v8, v[14:15]
	v_cvt_f32_f64_e32 v9, v[18:19]
	v_add_co_u32_e32 v4, vcc, s2, v32
	v_cvt_f64_f32_e32 v[34:35], v41
	v_addc_co_u32_e32 v5, vcc, v33, v37, vcc
	v_mul_f64 v[6:7], v[6:7], s[0:1]
	global_store_dwordx2 v[4:5], v[8:9], off
	s_waitcnt lgkmcnt(0)
	v_mul_f32_e32 v9, v1, v25
	v_fmac_f32_e32 v9, v0, v24
	v_mul_f32_e32 v0, v0, v25
	v_fma_f32 v0, v24, v1, -v0
	v_mul_f64 v[34:35], v[34:35], s[0:1]
	v_cvt_f64_f32_e32 v[12:13], v9
	v_cvt_f64_f32_e32 v[0:1], v0
	global_load_dwordx2 v[10:11], v68, s[12:13] offset:2880
	v_cvt_f32_f64_e32 v9, v[6:7]
	v_mul_f64 v[6:7], v[12:13], s[0:1]
	global_load_dwordx2 v[12:13], v68, s[12:13] offset:3200
	v_mul_f64 v[0:1], v[0:1], s[0:1]
	v_cvt_f32_f64_e32 v8, v[34:35]
	v_mov_b32_e32 v14, s3
	v_add_co_u32_e32 v4, vcc, s2, v4
	v_addc_co_u32_e32 v5, vcc, v5, v14, vcc
	global_store_dwordx2 v[4:5], v[8:9], off
	v_cvt_f32_f64_e32 v6, v[6:7]
	v_cvt_f32_f64_e32 v7, v[0:1]
	v_mov_b32_e32 v0, s3
	v_add_co_u32_e32 v4, vcc, s2, v4
	v_addc_co_u32_e32 v5, vcc, v5, v0, vcc
	s_waitcnt vmcnt(9)
	v_mul_f32_e32 v0, v3, v27
	v_fmac_f32_e32 v0, v2, v26
	v_cvt_f64_f32_e32 v[8:9], v0
	v_mul_f32_e32 v0, v2, v27
	v_fma_f32 v0, v26, v3, -v0
	v_cvt_f64_f32_e32 v[14:15], v0
	v_add_u32_e32 v22, 0x800, v68
	ds_read2_b64 v[0:3], v22 offset0:24 offset1:64
	global_store_dwordx2 v[4:5], v[6:7], off
	global_load_dwordx2 v[6:7], v68, s[12:13] offset:3520
	v_mul_f64 v[8:9], v[8:9], s[0:1]
	v_mul_f64 v[14:15], v[14:15], s[0:1]
	s_waitcnt vmcnt(10) lgkmcnt(0)
	v_mul_f32_e32 v16, v1, v29
	v_fmac_f32_e32 v16, v0, v28
	v_cvt_f64_f32_e32 v[16:17], v16
	v_mul_f32_e32 v0, v0, v29
	v_fma_f32 v0, v28, v1, -v0
	v_cvt_f64_f32_e32 v[0:1], v0
	v_cvt_f32_f64_e32 v8, v[8:9]
	v_cvt_f32_f64_e32 v9, v[14:15]
	v_mul_f64 v[14:15], v[16:17], s[0:1]
	global_load_dwordx2 v[16:17], v68, s[12:13] offset:3840
	v_mul_f64 v[0:1], v[0:1], s[0:1]
	v_mov_b32_e32 v18, s3
	v_add_co_u32_e32 v4, vcc, s2, v4
	v_addc_co_u32_e32 v5, vcc, v5, v18, vcc
	global_store_dwordx2 v[4:5], v[8:9], off
	v_or_b32_e32 v24, 0x140, v67
	v_cvt_f32_f64_e32 v9, v[0:1]
	s_waitcnt vmcnt(11)
	v_mul_f32_e32 v0, v3, v31
	v_fmac_f32_e32 v0, v2, v30
	v_mul_f32_e32 v2, v2, v31
	v_fma_f32 v2, v30, v3, -v2
	v_cvt_f64_f32_e32 v[0:1], v0
	v_cvt_f64_f32_e32 v[2:3], v2
	v_mad_u64_u32 v[20:21], s[6:7], s4, v24, 0
	v_cvt_f32_f64_e32 v8, v[14:15]
	v_mul_f64 v[14:15], v[0:1], s[0:1]
	v_mul_f64 v[18:19], v[2:3], s[0:1]
	v_mov_b32_e32 v23, s3
	v_add_co_u32_e32 v4, vcc, s2, v4
	v_addc_co_u32_e32 v5, vcc, v5, v23, vcc
	v_mov_b32_e32 v0, v21
	global_store_dwordx2 v[4:5], v[8:9], off
	v_mad_u64_u32 v[8:9], s[6:7], s5, v24, v[0:1]
	ds_read2_b64 v[0:3], v22 offset0:104 offset1:144
	v_cvt_f32_f64_e32 v14, v[14:15]
	v_cvt_f32_f64_e32 v15, v[18:19]
	v_mov_b32_e32 v21, v8
	v_lshlrev_b64 v[8:9], 3, v[20:21]
	v_add_co_u32_e32 v8, vcc, v38, v8
	v_addc_co_u32_e32 v9, vcc, v39, v9, vcc
	s_waitcnt vmcnt(7) lgkmcnt(0)
	v_mul_f32_e32 v18, v1, v11
	v_fmac_f32_e32 v18, v0, v10
	v_mul_f32_e32 v0, v0, v11
	v_fma_f32 v0, v10, v1, -v0
	v_cvt_f64_f32_e32 v[18:19], v18
	v_cvt_f64_f32_e32 v[0:1], v0
	s_waitcnt vmcnt(6)
	v_mul_f32_e32 v10, v3, v13
	global_store_dwordx2 v[8:9], v[14:15], off
	v_mul_f64 v[8:9], v[18:19], s[0:1]
	v_mul_f64 v[0:1], v[0:1], s[0:1]
	v_fmac_f32_e32 v10, v2, v12
	v_cvt_f64_f32_e32 v[10:11], v10
	v_mul_f32_e32 v2, v2, v13
	v_fma_f32 v2, v12, v3, -v2
	v_cvt_f64_f32_e32 v[2:3], v2
	v_mul_f64 v[10:11], v[10:11], s[0:1]
	v_mov_b32_e32 v14, 0x280
	v_mad_u64_u32 v[4:5], s[6:7], s4, v14, v[4:5]
	v_mul_f64 v[12:13], v[2:3], s[0:1]
	v_cvt_f32_f64_e32 v8, v[8:9]
	v_cvt_f32_f64_e32 v9, v[0:1]
	ds_read2_b64 v[0:3], v22 offset0:184 offset1:224
	s_mul_i32 s4, s5, 0x280
	v_add_u32_e32 v5, s4, v5
	global_store_dwordx2 v[4:5], v[8:9], off
	v_cvt_f32_f64_e32 v8, v[10:11]
	v_cvt_f32_f64_e32 v9, v[12:13]
	s_waitcnt vmcnt(5) lgkmcnt(0)
	v_mul_f32_e32 v10, v1, v7
	v_fmac_f32_e32 v10, v0, v6
	v_mul_f32_e32 v0, v0, v7
	v_fma_f32 v0, v6, v1, -v0
	v_cvt_f64_f32_e32 v[10:11], v10
	v_cvt_f64_f32_e32 v[0:1], v0
	v_mov_b32_e32 v12, s3
	v_add_co_u32_e32 v4, vcc, s2, v4
	v_addc_co_u32_e32 v5, vcc, v5, v12, vcc
	v_mul_f64 v[6:7], v[10:11], s[0:1]
	v_mul_f64 v[0:1], v[0:1], s[0:1]
	global_store_dwordx2 v[4:5], v[8:9], off
	s_waitcnt vmcnt(5)
	v_mul_f32_e32 v8, v3, v17
	v_fmac_f32_e32 v8, v2, v16
	v_mul_f32_e32 v2, v2, v17
	v_fma_f32 v2, v16, v3, -v2
	v_cvt_f64_f32_e32 v[8:9], v8
	v_cvt_f64_f32_e32 v[2:3], v2
	v_cvt_f32_f64_e32 v6, v[6:7]
	v_cvt_f32_f64_e32 v7, v[0:1]
	v_mul_f64 v[0:1], v[8:9], s[0:1]
	v_mul_f64 v[2:3], v[2:3], s[0:1]
	v_mov_b32_e32 v8, s3
	v_add_co_u32_e32 v4, vcc, s2, v4
	v_addc_co_u32_e32 v5, vcc, v5, v8, vcc
	global_store_dwordx2 v[4:5], v[6:7], off
	v_cvt_f32_f64_e32 v0, v[0:1]
	v_cvt_f32_f64_e32 v1, v[2:3]
	v_mov_b32_e32 v3, s3
	v_add_co_u32_e32 v2, vcc, s2, v4
	v_addc_co_u32_e32 v3, vcc, v5, v3, vcc
	global_store_dwordx2 v[2:3], v[0:1], off
.LBB0_23:
	s_endpgm
	.section	.rodata,"a",@progbits
	.p2align	6, 0x0
	.amdhsa_kernel bluestein_single_back_len520_dim1_sp_op_CI_CI
		.amdhsa_group_segment_fixed_size 4160
		.amdhsa_private_segment_fixed_size 0
		.amdhsa_kernarg_size 104
		.amdhsa_user_sgpr_count 6
		.amdhsa_user_sgpr_private_segment_buffer 1
		.amdhsa_user_sgpr_dispatch_ptr 0
		.amdhsa_user_sgpr_queue_ptr 0
		.amdhsa_user_sgpr_kernarg_segment_ptr 1
		.amdhsa_user_sgpr_dispatch_id 0
		.amdhsa_user_sgpr_flat_scratch_init 0
		.amdhsa_user_sgpr_private_segment_size 0
		.amdhsa_uses_dynamic_stack 0
		.amdhsa_system_sgpr_private_segment_wavefront_offset 0
		.amdhsa_system_sgpr_workgroup_id_x 1
		.amdhsa_system_sgpr_workgroup_id_y 0
		.amdhsa_system_sgpr_workgroup_id_z 0
		.amdhsa_system_sgpr_workgroup_info 0
		.amdhsa_system_vgpr_workitem_id 0
		.amdhsa_next_free_vgpr 186
		.amdhsa_next_free_sgpr 20
		.amdhsa_reserve_vcc 1
		.amdhsa_reserve_flat_scratch 0
		.amdhsa_float_round_mode_32 0
		.amdhsa_float_round_mode_16_64 0
		.amdhsa_float_denorm_mode_32 3
		.amdhsa_float_denorm_mode_16_64 3
		.amdhsa_dx10_clamp 1
		.amdhsa_ieee_mode 1
		.amdhsa_fp16_overflow 0
		.amdhsa_exception_fp_ieee_invalid_op 0
		.amdhsa_exception_fp_denorm_src 0
		.amdhsa_exception_fp_ieee_div_zero 0
		.amdhsa_exception_fp_ieee_overflow 0
		.amdhsa_exception_fp_ieee_underflow 0
		.amdhsa_exception_fp_ieee_inexact 0
		.amdhsa_exception_int_div_zero 0
	.end_amdhsa_kernel
	.text
.Lfunc_end0:
	.size	bluestein_single_back_len520_dim1_sp_op_CI_CI, .Lfunc_end0-bluestein_single_back_len520_dim1_sp_op_CI_CI
                                        ; -- End function
	.section	.AMDGPU.csdata,"",@progbits
; Kernel info:
; codeLenInByte = 12916
; NumSgprs: 24
; NumVgprs: 186
; ScratchSize: 0
; MemoryBound: 0
; FloatMode: 240
; IeeeMode: 1
; LDSByteSize: 4160 bytes/workgroup (compile time only)
; SGPRBlocks: 2
; VGPRBlocks: 46
; NumSGPRsForWavesPerEU: 24
; NumVGPRsForWavesPerEU: 186
; Occupancy: 1
; WaveLimiterHint : 1
; COMPUTE_PGM_RSRC2:SCRATCH_EN: 0
; COMPUTE_PGM_RSRC2:USER_SGPR: 6
; COMPUTE_PGM_RSRC2:TRAP_HANDLER: 0
; COMPUTE_PGM_RSRC2:TGID_X_EN: 1
; COMPUTE_PGM_RSRC2:TGID_Y_EN: 0
; COMPUTE_PGM_RSRC2:TGID_Z_EN: 0
; COMPUTE_PGM_RSRC2:TIDIG_COMP_CNT: 0
	.type	__hip_cuid_3425edd8ba595e99,@object ; @__hip_cuid_3425edd8ba595e99
	.section	.bss,"aw",@nobits
	.globl	__hip_cuid_3425edd8ba595e99
__hip_cuid_3425edd8ba595e99:
	.byte	0                               ; 0x0
	.size	__hip_cuid_3425edd8ba595e99, 1

	.ident	"AMD clang version 19.0.0git (https://github.com/RadeonOpenCompute/llvm-project roc-6.4.0 25133 c7fe45cf4b819c5991fe208aaa96edf142730f1d)"
	.section	".note.GNU-stack","",@progbits
	.addrsig
	.addrsig_sym __hip_cuid_3425edd8ba595e99
	.amdgpu_metadata
---
amdhsa.kernels:
  - .args:
      - .actual_access:  read_only
        .address_space:  global
        .offset:         0
        .size:           8
        .value_kind:     global_buffer
      - .actual_access:  read_only
        .address_space:  global
        .offset:         8
        .size:           8
        .value_kind:     global_buffer
      - .actual_access:  read_only
        .address_space:  global
        .offset:         16
        .size:           8
        .value_kind:     global_buffer
      - .actual_access:  read_only
        .address_space:  global
        .offset:         24
        .size:           8
        .value_kind:     global_buffer
      - .actual_access:  read_only
        .address_space:  global
        .offset:         32
        .size:           8
        .value_kind:     global_buffer
      - .offset:         40
        .size:           8
        .value_kind:     by_value
      - .address_space:  global
        .offset:         48
        .size:           8
        .value_kind:     global_buffer
      - .address_space:  global
        .offset:         56
        .size:           8
        .value_kind:     global_buffer
      - .address_space:  global
        .offset:         64
        .size:           8
        .value_kind:     global_buffer
      - .address_space:  global
        .offset:         72
        .size:           8
        .value_kind:     global_buffer
      - .offset:         80
        .size:           4
        .value_kind:     by_value
      - .address_space:  global
        .offset:         88
        .size:           8
        .value_kind:     global_buffer
      - .address_space:  global
        .offset:         96
        .size:           8
        .value_kind:     global_buffer
    .group_segment_fixed_size: 4160
    .kernarg_segment_align: 8
    .kernarg_segment_size: 104
    .language:       OpenCL C
    .language_version:
      - 2
      - 0
    .max_flat_workgroup_size: 52
    .name:           bluestein_single_back_len520_dim1_sp_op_CI_CI
    .private_segment_fixed_size: 0
    .sgpr_count:     24
    .sgpr_spill_count: 0
    .symbol:         bluestein_single_back_len520_dim1_sp_op_CI_CI.kd
    .uniform_work_group_size: 1
    .uses_dynamic_stack: false
    .vgpr_count:     186
    .vgpr_spill_count: 0
    .wavefront_size: 64
amdhsa.target:   amdgcn-amd-amdhsa--gfx906
amdhsa.version:
  - 1
  - 2
...

	.end_amdgpu_metadata
